;; amdgpu-corpus repo=ROCm/rocFFT kind=compiled arch=gfx1030 opt=O3
	.text
	.amdgcn_target "amdgcn-amd-amdhsa--gfx1030"
	.amdhsa_code_object_version 6
	.protected	fft_rtc_fwd_len1200_factors_5_5_16_3_wgs_225_tpt_75_halfLds_dp_ip_CI_unitstride_sbrr_R2C_dirReg ; -- Begin function fft_rtc_fwd_len1200_factors_5_5_16_3_wgs_225_tpt_75_halfLds_dp_ip_CI_unitstride_sbrr_R2C_dirReg
	.globl	fft_rtc_fwd_len1200_factors_5_5_16_3_wgs_225_tpt_75_halfLds_dp_ip_CI_unitstride_sbrr_R2C_dirReg
	.p2align	8
	.type	fft_rtc_fwd_len1200_factors_5_5_16_3_wgs_225_tpt_75_halfLds_dp_ip_CI_unitstride_sbrr_R2C_dirReg,@function
fft_rtc_fwd_len1200_factors_5_5_16_3_wgs_225_tpt_75_halfLds_dp_ip_CI_unitstride_sbrr_R2C_dirReg: ; @fft_rtc_fwd_len1200_factors_5_5_16_3_wgs_225_tpt_75_halfLds_dp_ip_CI_unitstride_sbrr_R2C_dirReg
; %bb.0:
	s_load_dwordx4 s[8:11], s[4:5], 0x0
	v_mul_u32_u24_e32 v1, 0x36a, v0
	s_clause 0x1
	s_load_dwordx2 s[2:3], s[4:5], 0x50
	s_load_dwordx2 s[12:13], s[4:5], 0x18
	v_mov_b32_e32 v5, 0
	v_mov_b32_e32 v3, 0
	;; [unrolled: 1-line block ×3, first 2 shown]
	v_lshrrev_b32_e32 v1, 16, v1
	v_mad_u64_u32 v[1:2], null, s6, 3, v[1:2]
	v_mov_b32_e32 v2, v5
	v_mov_b32_e32 v10, v2
	;; [unrolled: 1-line block ×3, first 2 shown]
	s_waitcnt lgkmcnt(0)
	v_cmp_lt_u64_e64 s0, s[10:11], 2
	s_and_b32 vcc_lo, exec_lo, s0
	s_cbranch_vccnz .LBB0_8
; %bb.1:
	s_load_dwordx2 s[0:1], s[4:5], 0x10
	v_mov_b32_e32 v3, 0
	v_mov_b32_e32 v8, v2
	s_add_u32 s6, s12, 8
	v_mov_b32_e32 v4, 0
	v_mov_b32_e32 v7, v1
	s_addc_u32 s7, s13, 0
	s_mov_b64 s[16:17], 1
	s_waitcnt lgkmcnt(0)
	s_add_u32 s14, s0, 8
	s_addc_u32 s15, s1, 0
.LBB0_2:                                ; =>This Inner Loop Header: Depth=1
	s_load_dwordx2 s[18:19], s[14:15], 0x0
                                        ; implicit-def: $vgpr9_vgpr10
	s_mov_b32 s0, exec_lo
	s_waitcnt lgkmcnt(0)
	v_or_b32_e32 v6, s19, v8
	v_cmpx_ne_u64_e32 0, v[5:6]
	s_xor_b32 s1, exec_lo, s0
	s_cbranch_execz .LBB0_4
; %bb.3:                                ;   in Loop: Header=BB0_2 Depth=1
	v_cvt_f32_u32_e32 v2, s18
	v_cvt_f32_u32_e32 v6, s19
	s_sub_u32 s0, 0, s18
	s_subb_u32 s20, 0, s19
	v_fmac_f32_e32 v2, 0x4f800000, v6
	v_rcp_f32_e32 v2, v2
	v_mul_f32_e32 v2, 0x5f7ffffc, v2
	v_mul_f32_e32 v6, 0x2f800000, v2
	v_trunc_f32_e32 v6, v6
	v_fmac_f32_e32 v2, 0xcf800000, v6
	v_cvt_u32_f32_e32 v6, v6
	v_cvt_u32_f32_e32 v2, v2
	v_mul_lo_u32 v9, s0, v6
	v_mul_hi_u32 v10, s0, v2
	v_mul_lo_u32 v11, s20, v2
	v_add_nc_u32_e32 v9, v10, v9
	v_mul_lo_u32 v10, s0, v2
	v_add_nc_u32_e32 v9, v9, v11
	v_mul_hi_u32 v11, v2, v10
	v_mul_lo_u32 v12, v2, v9
	v_mul_hi_u32 v13, v2, v9
	v_mul_hi_u32 v14, v6, v10
	v_mul_lo_u32 v10, v6, v10
	v_mul_hi_u32 v15, v6, v9
	v_mul_lo_u32 v9, v6, v9
	v_add_co_u32 v11, vcc_lo, v11, v12
	v_add_co_ci_u32_e32 v12, vcc_lo, 0, v13, vcc_lo
	v_add_co_u32 v10, vcc_lo, v11, v10
	v_add_co_ci_u32_e32 v10, vcc_lo, v12, v14, vcc_lo
	v_add_co_ci_u32_e32 v11, vcc_lo, 0, v15, vcc_lo
	v_add_co_u32 v9, vcc_lo, v10, v9
	v_add_co_ci_u32_e32 v10, vcc_lo, 0, v11, vcc_lo
	v_add_co_u32 v2, vcc_lo, v2, v9
	v_add_co_ci_u32_e32 v6, vcc_lo, v6, v10, vcc_lo
	v_mul_hi_u32 v9, s0, v2
	v_mul_lo_u32 v11, s20, v2
	v_mul_lo_u32 v10, s0, v6
	v_add_nc_u32_e32 v9, v9, v10
	v_mul_lo_u32 v10, s0, v2
	v_add_nc_u32_e32 v9, v9, v11
	v_mul_hi_u32 v11, v2, v10
	v_mul_lo_u32 v12, v2, v9
	v_mul_hi_u32 v13, v2, v9
	v_mul_hi_u32 v14, v6, v10
	v_mul_lo_u32 v10, v6, v10
	v_mul_hi_u32 v15, v6, v9
	v_mul_lo_u32 v9, v6, v9
	v_add_co_u32 v11, vcc_lo, v11, v12
	v_add_co_ci_u32_e32 v12, vcc_lo, 0, v13, vcc_lo
	v_add_co_u32 v10, vcc_lo, v11, v10
	v_add_co_ci_u32_e32 v10, vcc_lo, v12, v14, vcc_lo
	v_add_co_ci_u32_e32 v11, vcc_lo, 0, v15, vcc_lo
	v_add_co_u32 v9, vcc_lo, v10, v9
	v_add_co_ci_u32_e32 v10, vcc_lo, 0, v11, vcc_lo
	v_add_co_u32 v2, vcc_lo, v2, v9
	v_add_co_ci_u32_e32 v6, vcc_lo, v6, v10, vcc_lo
	v_mul_hi_u32 v15, v7, v2
	v_mad_u64_u32 v[11:12], null, v8, v2, 0
	v_mad_u64_u32 v[9:10], null, v7, v6, 0
	v_mad_u64_u32 v[13:14], null, v8, v6, 0
	v_add_co_u32 v2, vcc_lo, v15, v9
	v_add_co_ci_u32_e32 v6, vcc_lo, 0, v10, vcc_lo
	v_add_co_u32 v2, vcc_lo, v2, v11
	v_add_co_ci_u32_e32 v2, vcc_lo, v6, v12, vcc_lo
	v_add_co_ci_u32_e32 v6, vcc_lo, 0, v14, vcc_lo
	v_add_co_u32 v2, vcc_lo, v2, v13
	v_add_co_ci_u32_e32 v6, vcc_lo, 0, v6, vcc_lo
	v_mul_lo_u32 v11, s19, v2
	v_mad_u64_u32 v[9:10], null, s18, v2, 0
	v_mul_lo_u32 v12, s18, v6
	v_sub_co_u32 v9, vcc_lo, v7, v9
	v_add3_u32 v10, v10, v12, v11
	v_sub_nc_u32_e32 v11, v8, v10
	v_subrev_co_ci_u32_e64 v11, s0, s19, v11, vcc_lo
	v_add_co_u32 v12, s0, v2, 2
	v_add_co_ci_u32_e64 v13, s0, 0, v6, s0
	v_sub_co_u32 v14, s0, v9, s18
	v_sub_co_ci_u32_e32 v10, vcc_lo, v8, v10, vcc_lo
	v_subrev_co_ci_u32_e64 v11, s0, 0, v11, s0
	v_cmp_le_u32_e32 vcc_lo, s18, v14
	v_cmp_eq_u32_e64 s0, s19, v10
	v_cndmask_b32_e64 v14, 0, -1, vcc_lo
	v_cmp_le_u32_e32 vcc_lo, s19, v11
	v_cndmask_b32_e64 v15, 0, -1, vcc_lo
	v_cmp_le_u32_e32 vcc_lo, s18, v9
	;; [unrolled: 2-line block ×3, first 2 shown]
	v_cndmask_b32_e64 v16, 0, -1, vcc_lo
	v_cmp_eq_u32_e32 vcc_lo, s19, v11
	v_cndmask_b32_e64 v9, v16, v9, s0
	v_cndmask_b32_e32 v11, v15, v14, vcc_lo
	v_add_co_u32 v14, vcc_lo, v2, 1
	v_add_co_ci_u32_e32 v15, vcc_lo, 0, v6, vcc_lo
	v_cmp_ne_u32_e32 vcc_lo, 0, v11
	v_cndmask_b32_e32 v10, v15, v13, vcc_lo
	v_cndmask_b32_e32 v11, v14, v12, vcc_lo
	v_cmp_ne_u32_e32 vcc_lo, 0, v9
	v_cndmask_b32_e32 v10, v6, v10, vcc_lo
	v_cndmask_b32_e32 v9, v2, v11, vcc_lo
.LBB0_4:                                ;   in Loop: Header=BB0_2 Depth=1
	s_andn2_saveexec_b32 s0, s1
	s_cbranch_execz .LBB0_6
; %bb.5:                                ;   in Loop: Header=BB0_2 Depth=1
	v_cvt_f32_u32_e32 v2, s18
	s_sub_i32 s1, 0, s18
	v_rcp_iflag_f32_e32 v2, v2
	v_mul_f32_e32 v2, 0x4f7ffffe, v2
	v_cvt_u32_f32_e32 v2, v2
	v_mul_lo_u32 v6, s1, v2
	v_mul_hi_u32 v6, v2, v6
	v_add_nc_u32_e32 v2, v2, v6
	v_mul_hi_u32 v2, v7, v2
	v_mul_lo_u32 v6, v2, s18
	v_add_nc_u32_e32 v9, 1, v2
	v_sub_nc_u32_e32 v6, v7, v6
	v_subrev_nc_u32_e32 v10, s18, v6
	v_cmp_le_u32_e32 vcc_lo, s18, v6
	v_cndmask_b32_e32 v6, v6, v10, vcc_lo
	v_cndmask_b32_e32 v2, v2, v9, vcc_lo
	v_mov_b32_e32 v10, v5
	v_cmp_le_u32_e32 vcc_lo, s18, v6
	v_add_nc_u32_e32 v9, 1, v2
	v_cndmask_b32_e32 v9, v2, v9, vcc_lo
.LBB0_6:                                ;   in Loop: Header=BB0_2 Depth=1
	s_or_b32 exec_lo, exec_lo, s0
	s_load_dwordx2 s[0:1], s[6:7], 0x0
	v_mul_lo_u32 v2, v10, s18
	v_mul_lo_u32 v6, v9, s19
	v_mad_u64_u32 v[11:12], null, v9, s18, 0
	s_add_u32 s16, s16, 1
	s_addc_u32 s17, s17, 0
	s_add_u32 s6, s6, 8
	s_addc_u32 s7, s7, 0
	;; [unrolled: 2-line block ×3, first 2 shown]
	v_add3_u32 v2, v12, v6, v2
	v_sub_co_u32 v6, vcc_lo, v7, v11
	v_sub_co_ci_u32_e32 v2, vcc_lo, v8, v2, vcc_lo
	s_waitcnt lgkmcnt(0)
	v_mul_lo_u32 v7, s1, v6
	v_mul_lo_u32 v2, s0, v2
	v_mad_u64_u32 v[3:4], null, s0, v6, v[3:4]
	v_cmp_ge_u64_e64 s0, s[16:17], s[10:11]
	s_and_b32 vcc_lo, exec_lo, s0
	v_add3_u32 v4, v7, v4, v2
	s_cbranch_vccnz .LBB0_8
; %bb.7:                                ;   in Loop: Header=BB0_2 Depth=1
	v_mov_b32_e32 v7, v9
	v_mov_b32_e32 v8, v10
	s_branch .LBB0_2
.LBB0_8:
	s_lshl_b64 s[0:1], s[10:11], 3
	v_mul_hi_u32 v2, 0xaaaaaaab, v1
	s_add_u32 s0, s12, s0
	s_addc_u32 s1, s13, s1
	v_mul_hi_u32 v5, 0x369d037, v0
	s_load_dwordx2 s[0:1], s[0:1], 0x0
	s_load_dwordx2 s[4:5], s[4:5], 0x20
	v_lshrrev_b32_e32 v2, 1, v2
	v_mul_u32_u24_e32 v5, 0x4b, v5
	v_lshl_add_u32 v6, v2, 1, v2
	v_sub_nc_u32_e32 v144, v0, v5
	v_sub_nc_u32_e32 v0, v1, v6
	v_add_nc_u32_e32 v146, 0x4b, v144
	v_add_nc_u32_e32 v152, 0x96, v144
	;; [unrolled: 1-line block ×3, first 2 shown]
	s_waitcnt lgkmcnt(0)
	v_mul_lo_u32 v5, s0, v10
	v_mul_lo_u32 v7, s1, v9
	v_mad_u64_u32 v[2:3], null, s0, v9, v[3:4]
	v_cmp_gt_u64_e32 vcc_lo, s[4:5], v[9:10]
	v_cmp_le_u64_e64 s0, s[4:5], v[9:10]
	v_add3_u32 v3, v7, v3, v5
	s_and_saveexec_b32 s1, s0
	s_xor_b32 s0, exec_lo, s1
; %bb.9:
	v_add_nc_u32_e32 v146, 0x4b, v144
	v_add_nc_u32_e32 v152, 0x96, v144
	;; [unrolled: 1-line block ×3, first 2 shown]
; %bb.10:
	s_or_saveexec_b32 s1, s0
	v_mul_u32_u24_e32 v151, 0x4b1, v0
	v_lshlrev_b64 v[148:149], 4, v[2:3]
	v_lshlrev_b32_e32 v147, 4, v144
	v_lshlrev_b32_e32 v156, 4, v151
	s_xor_b32 exec_lo, exec_lo, s1
	s_cbranch_execz .LBB0_12
; %bb.11:
	v_mov_b32_e32 v145, 0
	v_add_co_u32 v2, s0, s2, v148
	v_add_co_ci_u32_e64 v3, s0, s3, v149, s0
	v_lshlrev_b64 v[0:1], 4, v[144:145]
	v_add3_u32 v64, 0, v156, v147
	v_add_co_u32 v8, s0, v2, v0
	v_add_co_ci_u32_e64 v9, s0, v3, v1, s0
	s_clause 0x1
	global_load_dwordx4 v[0:3], v[8:9], off
	global_load_dwordx4 v[4:7], v[8:9], off offset:1200
	v_add_co_u32 v12, s0, 0x800, v8
	v_add_co_ci_u32_e64 v13, s0, 0, v9, s0
	v_add_co_u32 v20, s0, 0x1000, v8
	v_add_co_ci_u32_e64 v21, s0, 0, v9, s0
	;; [unrolled: 2-line block ×8, first 2 shown]
	s_clause 0xd
	global_load_dwordx4 v[8:11], v[12:13], off offset:352
	global_load_dwordx4 v[12:15], v[12:13], off offset:1552
	;; [unrolled: 1-line block ×14, first 2 shown]
	s_waitcnt vmcnt(15)
	ds_write_b128 v64, v[0:3]
	s_waitcnt vmcnt(14)
	ds_write_b128 v64, v[4:7] offset:1200
	s_waitcnt vmcnt(13)
	ds_write_b128 v64, v[8:11] offset:2400
	;; [unrolled: 2-line block ×15, first 2 shown]
.LBB0_12:
	s_or_b32 exec_lo, exec_lo, s1
	v_add_nc_u32_e32 v153, 0, v147
	v_add_nc_u32_e32 v155, 0, v156
	s_waitcnt lgkmcnt(0)
	s_barrier
	buffer_gl0_inv
	v_add_nc_u32_e32 v145, v153, v156
	v_add_nc_u32_e32 v154, v155, v147
	s_mov_b32 s0, 0x134454ff
	s_mov_b32 s1, 0x3fee6f0e
	;; [unrolled: 1-line block ×3, first 2 shown]
	ds_read_b128 v[8:11], v145 offset:3840
	ds_read_b128 v[4:7], v154
	ds_read_b128 v[0:3], v145 offset:1200
	ds_read_b128 v[16:19], v145 offset:5040
	;; [unrolled: 1-line block ×18, first 2 shown]
	s_mov_b32 s4, s0
	s_waitcnt lgkmcnt(18)
	v_add_f64 v[80:81], v[4:5], v[8:9]
	v_add_f64 v[82:83], v[6:7], v[10:11]
	s_waitcnt lgkmcnt(16)
	v_add_f64 v[84:85], v[0:1], v[16:17]
	v_add_f64 v[86:87], v[2:3], v[18:19]
	s_waitcnt lgkmcnt(14)
	v_add_f64 v[88:89], v[20:21], v[12:13]
	v_add_f64 v[90:91], v[22:23], -v[14:15]
	v_add_f64 v[92:93], v[8:9], -v[20:21]
	;; [unrolled: 1-line block ×3, first 2 shown]
	v_add_f64 v[100:101], v[22:23], v[14:15]
	v_add_f64 v[102:103], v[20:21], -v[12:13]
	v_add_f64 v[104:105], v[10:11], -v[22:23]
	v_add_f64 v[106:107], v[22:23], -v[10:11]
	s_waitcnt lgkmcnt(9)
	v_add_f64 v[108:109], v[10:11], -v[42:43]
	s_waitcnt lgkmcnt(6)
	v_add_f64 v[112:113], v[50:51], v[54:55]
	v_add_f64 v[114:115], v[8:9], v[40:41]
	v_add_f64 v[116:117], v[8:9], -v[40:41]
	v_add_f64 v[8:9], v[10:11], v[42:43]
	v_add_f64 v[96:97], v[32:33], v[28:29]
	;; [unrolled: 1-line block ×4, first 2 shown]
	v_add_f64 v[118:119], v[40:41], -v[12:13]
	v_add_f64 v[120:121], v[12:13], -v[40:41]
	v_add_f64 v[10:11], v[80:81], v[20:21]
	v_add_f64 v[20:21], v[82:83], v[22:23]
	;; [unrolled: 1-line block ×4, first 2 shown]
	v_add_f64 v[82:83], v[42:43], -v[14:15]
	v_add_f64 v[84:85], v[14:15], -v[42:43]
	v_add_f64 v[86:87], v[24:25], v[36:37]
	v_add_f64 v[124:125], v[16:17], -v[24:25]
	v_add_f64 v[126:127], v[24:25], -v[16:17]
	v_add_f64 v[128:129], v[26:27], v[38:39]
	v_add_f64 v[24:25], v[24:25], -v[36:37]
	v_add_f64 v[136:137], v[44:45], -v[36:37]
	;; [unrolled: 1-line block ×3, first 2 shown]
	s_waitcnt lgkmcnt(4)
	v_add_f64 v[112:113], v[112:113], v[62:63]
	v_fma_f64 v[114:115], v[114:115], -0.5, v[4:5]
	v_fma_f64 v[4:5], v[88:89], -0.5, v[4:5]
	v_add_f64 v[122:123], v[26:27], -v[38:39]
	v_add_f64 v[96:97], v[96:97], v[56:57]
	v_add_f64 v[98:99], v[98:99], v[58:59]
	;; [unrolled: 1-line block ×3, first 2 shown]
	v_add_f64 v[130:131], v[18:19], -v[26:27]
	v_add_f64 v[26:27], v[26:27], -v[18:19]
	v_add_f64 v[10:11], v[10:11], v[12:13]
	v_add_f64 v[12:13], v[20:21], v[14:15]
	;; [unrolled: 1-line block ×4, first 2 shown]
	v_add_f64 v[132:133], v[18:19], -v[46:47]
	v_add_f64 v[134:135], v[16:17], v[44:45]
	v_add_f64 v[16:17], v[16:17], -v[44:45]
	v_add_f64 v[18:19], v[18:19], v[46:47]
	v_add_f64 v[140:141], v[46:47], -v[38:39]
	v_add_f64 v[142:143], v[38:39], -v[46:47]
	v_add_f64 v[94:95], v[94:95], v[120:121]
	s_mov_b32 s6, 0x4755a5e
	s_mov_b32 s7, 0x3fe2cf23
	s_waitcnt lgkmcnt(2)
	v_add_f64 v[112:113], v[112:113], v[70:71]
	s_mov_b32 s11, 0xbfe2cf23
	s_mov_b32 s10, s6
	v_add_f64 v[157:158], v[56:57], v[64:65]
	v_add_f64 v[96:97], v[96:97], v[64:65]
	;; [unrolled: 1-line block ×4, first 2 shown]
	v_add_f64 v[159:160], v[58:59], -v[66:67]
	v_add_f64 v[161:162], v[28:29], -v[56:57]
	v_add_f64 v[20:21], v[10:11], v[40:41]
	v_add_f64 v[22:23], v[12:13], v[42:43]
	;; [unrolled: 1-line block ×3, first 2 shown]
	v_fma_f64 v[14:15], v[8:9], -0.5, v[6:7]
	v_fma_f64 v[6:7], v[100:101], -0.5, v[6:7]
	v_add_f64 v[38:39], v[80:81], v[46:47]
	v_fma_f64 v[40:41], v[90:91], s[4:5], v[114:115]
	v_fma_f64 v[44:45], v[86:87], -0.5, v[0:1]
	v_fma_f64 v[46:47], v[128:129], -0.5, v[2:3]
	v_add_f64 v[163:164], v[56:57], -v[28:29]
	v_add_f64 v[165:166], v[58:59], v[66:67]
	v_add_f64 v[56:57], v[56:57], -v[64:65]
	v_add_f64 v[167:168], v[30:31], -v[58:59]
	s_waitcnt lgkmcnt(0)
	v_add_f64 v[10:11], v[112:113], v[78:79]
	v_fma_f64 v[112:113], v[90:91], s[0:1], v[114:115]
	v_fma_f64 v[114:115], v[108:109], s[0:1], v[4:5]
	v_fma_f64 v[4:5], v[108:109], s[4:5], v[4:5]
	v_add_f64 v[58:59], v[58:59], -v[30:31]
	v_add_f64 v[169:170], v[30:31], -v[74:75]
	v_add_f64 v[12:13], v[28:29], v[72:73]
	v_add_f64 v[80:81], v[28:29], -v[72:73]
	v_add_f64 v[171:172], v[30:31], v[74:75]
	v_add_f64 v[28:29], v[96:97], v[72:73]
	;; [unrolled: 1-line block ×3, first 2 shown]
	v_add_f64 v[96:97], v[72:73], -v[64:65]
	v_fma_f64 v[42:43], v[102:103], s[0:1], v[14:15]
	v_fma_f64 v[14:15], v[102:103], s[4:5], v[14:15]
	;; [unrolled: 1-line block ×4, first 2 shown]
	v_add_f64 v[64:65], v[64:65], -v[72:73]
	v_add_f64 v[72:73], v[74:75], -v[66:67]
	;; [unrolled: 1-line block ×3, first 2 shown]
	v_add_f64 v[8:9], v[110:111], v[76:77]
	v_add_f64 v[74:75], v[60:61], v[68:69]
	v_add_f64 v[88:89], v[62:63], -v[70:71]
	v_add_f64 v[98:99], v[52:53], -v[60:61]
	;; [unrolled: 1-line block ×3, first 2 shown]
	v_add_f64 v[110:111], v[62:63], v[70:71]
	v_add_f64 v[60:61], v[60:61], -v[68:69]
	v_add_f64 v[86:87], v[54:55], -v[62:63]
	;; [unrolled: 1-line block ×4, first 2 shown]
	v_add_f64 v[173:174], v[52:53], v[76:77]
	v_fma_f64 v[40:41], v[108:109], s[6:7], v[40:41]
	v_add_f64 v[84:85], v[106:107], v[84:85]
	v_add_f64 v[106:107], v[52:53], -v[76:77]
	v_add_f64 v[175:176], v[54:55], v[78:79]
	v_fma_f64 v[42:43], v[116:117], s[10:11], v[42:43]
	v_fma_f64 v[52:53], v[132:133], s[0:1], v[44:45]
	;; [unrolled: 1-line block ×3, first 2 shown]
	v_add_f64 v[177:178], v[76:77], -v[68:69]
	v_fma_f64 v[108:109], v[108:109], s[10:11], v[112:113]
	v_fma_f64 v[14:15], v[116:117], s[6:7], v[14:15]
	v_add_f64 v[92:93], v[92:93], v[118:119]
	v_fma_f64 v[112:113], v[90:91], s[6:7], v[114:115]
	v_add_f64 v[68:69], v[68:69], -v[76:77]
	v_add_f64 v[76:77], v[104:105], v[82:83]
	v_fma_f64 v[82:83], v[102:103], s[10:11], v[120:121]
	v_fma_f64 v[90:91], v[90:91], s[10:11], v[4:5]
	v_fma_f64 v[2:3], v[18:19], -0.5, v[2:3]
	v_fma_f64 v[102:103], v[102:103], s[6:7], v[6:7]
	s_mov_b32 s12, 0x372fe950
	s_mov_b32 s13, 0x3fd3c6ef
	v_fma_f64 v[0:1], v[134:135], -0.5, v[0:1]
	v_add_f64 v[104:105], v[78:79], -v[70:71]
	v_add_f64 v[70:71], v[70:71], -v[78:79]
	v_fma_f64 v[40:41], v[94:95], s[12:13], v[40:41]
	v_add_f64 v[78:79], v[130:131], v[140:141]
	v_fma_f64 v[118:119], v[132:133], s[4:5], v[44:45]
	v_fma_f64 v[42:43], v[84:85], s[12:13], v[42:43]
	;; [unrolled: 1-line block ×4, first 2 shown]
	v_fma_f64 v[12:13], v[12:13], -0.5, v[32:33]
	v_fma_f64 v[44:45], v[94:95], s[12:13], v[108:109]
	v_fma_f64 v[94:95], v[16:17], s[0:1], v[46:47]
	;; [unrolled: 1-line block ×3, first 2 shown]
	v_fma_f64 v[84:85], v[157:158], -0.5, v[32:33]
	v_fma_f64 v[108:109], v[165:166], -0.5, v[34:35]
	;; [unrolled: 1-line block ×3, first 2 shown]
	v_fma_f64 v[6:7], v[76:77], s[12:13], v[82:83]
	v_fma_f64 v[52:53], v[92:93], s[12:13], v[90:91]
	;; [unrolled: 1-line block ×4, first 2 shown]
	v_fma_f64 v[90:91], v[110:111], -0.5, v[50:51]
	v_fma_f64 v[48:49], v[173:174], -0.5, v[48:49]
	;; [unrolled: 1-line block ×3, first 2 shown]
	v_add_f64 v[18:19], v[124:125], v[136:137]
	v_fma_f64 v[54:55], v[76:77], s[12:13], v[102:103]
	v_fma_f64 v[76:77], v[171:172], -0.5, v[34:35]
	v_fma_f64 v[4:5], v[92:93], s[12:13], v[112:113]
	v_fma_f64 v[14:15], v[122:123], s[4:5], v[0:1]
	;; [unrolled: 1-line block ×8, first 2 shown]
	v_add_f64 v[94:95], v[126:127], v[138:139]
	v_fma_f64 v[102:103], v[169:170], s[0:1], v[84:85]
	v_fma_f64 v[110:111], v[80:81], s[4:5], v[108:109]
	;; [unrolled: 1-line block ×4, first 2 shown]
	v_add_f64 v[26:27], v[26:27], v[142:143]
	v_fma_f64 v[82:83], v[16:17], s[10:11], v[82:83]
	v_fma_f64 v[2:3], v[16:17], s[6:7], v[2:3]
	;; [unrolled: 1-line block ×15, first 2 shown]
	v_add_f64 v[96:97], v[161:162], v[96:97]
	v_add_f64 v[72:73], v[167:168], v[72:73]
	v_fma_f64 v[102:103], v[159:160], s[6:7], v[102:103]
	v_fma_f64 v[110:111], v[56:57], s[10:11], v[110:111]
	v_add_f64 v[122:123], v[163:164], v[64:65]
	v_fma_f64 v[12:13], v[169:170], s[10:11], v[12:13]
	v_add_f64 v[98:99], v[98:99], v[177:178]
	v_add_f64 v[86:87], v[86:87], v[104:105]
	;; [unrolled: 1-line block ×3, first 2 shown]
	v_fma_f64 v[16:17], v[88:89], s[6:7], v[16:17]
	v_fma_f64 v[104:105], v[60:61], s[10:11], v[116:117]
	;; [unrolled: 1-line block ×5, first 2 shown]
	v_add_f64 v[118:119], v[62:63], v[70:71]
	v_fma_f64 v[120:121], v[106:107], s[10:11], v[120:121]
	v_fma_f64 v[126:127], v[128:129], s[10:11], v[48:49]
	;; [unrolled: 1-line block ×5, first 2 shown]
	v_add_f64 v[124:125], v[58:59], v[66:67]
	v_fma_f64 v[114:115], v[80:81], s[10:11], v[114:115]
	v_fma_f64 v[80:81], v[80:81], s[6:7], v[76:77]
	;; [unrolled: 1-line block ×25, first 2 shown]
	v_mad_u32_u24 v130, 0x50, v144, v155
	s_barrier
	buffer_gl0_inv
	ds_write_b128 v130, v[20:23]
	ds_write_b128 v130, v[4:7] offset:16
	v_mad_i32_i24 v4, 0x50, v152, 0
	v_mad_i32_i24 v5, 0x50, v146, v155
	v_cmp_gt_u32_e64 s0, 15, v144
	ds_write_b128 v130, v[40:43] offset:32
	ds_write_b128 v130, v[44:47] offset:48
	;; [unrolled: 1-line block ×3, first 2 shown]
	ds_write_b128 v5, v[36:39]
	v_add_nc_u32_e32 v6, v4, v156
	ds_write_b128 v5, v[32:35] offset:16
	ds_write_b128 v5, v[56:59] offset:32
	;; [unrolled: 1-line block ×4, first 2 shown]
	ds_write_b128 v6, v[28:31]
	ds_write_b128 v6, v[64:67] offset:16
	ds_write_b128 v6, v[72:75] offset:32
	;; [unrolled: 1-line block ×4, first 2 shown]
	s_and_saveexec_b32 s1, s0
	s_cbranch_execz .LBB0_14
; %bb.13:
	v_mul_i32_i24_e32 v5, 0x50, v150
	v_add3_u32 v5, 0, v5, v156
	ds_write_b128 v5, v[8:11]
	ds_write_b128 v5, v[0:3] offset:16
	ds_write_b128 v5, v[12:15] offset:32
	;; [unrolled: 1-line block ×4, first 2 shown]
.LBB0_14:
	s_or_b32 exec_lo, exec_lo, s1
	v_lshlrev_b32_e32 v5, 6, v152
	s_waitcnt lgkmcnt(0)
	s_barrier
	buffer_gl0_inv
	ds_read_b128 v[28:31], v154
	ds_read_b128 v[76:79], v145 offset:3840
	v_sub_nc_u32_e32 v4, v4, v5
	v_lshlrev_b32_e32 v5, 4, v146
	ds_read_b128 v[68:71], v145 offset:7680
	ds_read_b128 v[36:39], v145 offset:8880
	;; [unrolled: 1-line block ×4, first 2 shown]
	v_lshlrev_b32_e32 v159, 4, v150
	v_add_nc_u32_e32 v157, v4, v156
	v_add3_u32 v158, 0, v5, v156
	ds_read_b128 v[4:7], v157
	ds_read_b128 v[60:63], v145 offset:5040
	ds_read_b128 v[40:43], v145 offset:6240
	;; [unrolled: 1-line block ×6, first 2 shown]
	ds_read_b128 v[20:23], v158
	ds_read_b128 v[52:55], v145 offset:17760
	s_and_saveexec_b32 s1, s0
	s_cbranch_execz .LBB0_16
; %bb.15:
	v_add3_u32 v8, 0, v159, v156
	ds_read_b128 v[0:3], v145 offset:7440
	ds_read_b128 v[12:15], v145 offset:11280
	ds_read_b128 v[8:11], v8
	ds_read_b128 v[16:19], v145 offset:15120
	ds_read_b128 v[24:27], v145 offset:18960
.LBB0_16:
	s_or_b32 exec_lo, exec_lo, s1
	v_and_b32_e32 v161, 0xff, v144
	v_mov_b32_e32 v88, 6
	v_mov_b32_e32 v90, 0xcccd
	;; [unrolled: 1-line block ×3, first 2 shown]
	s_mov_b32 s4, 0x134454ff
	v_mul_lo_u16 v80, 0xcd, v161
	s_mov_b32 s5, 0x3fee6f0e
	v_mul_u32_u24_sdwa v90, v150, v90 dst_sel:DWORD dst_unused:UNUSED_PAD src0_sel:WORD_0 src1_sel:DWORD
	s_mov_b32 s15, 0xbfee6f0e
	s_mov_b32 s14, s4
	v_lshrrev_b16 v163, 10, v80
	v_and_b32_e32 v80, 0xff, v146
	s_mov_b32 s13, 0xbfe2cf23
	s_mov_b32 s12, s6
	;; [unrolled: 1-line block ×3, first 2 shown]
	v_mul_lo_u16 v81, v163, 5
	v_mul_lo_u16 v80, 0xcd, v80
	v_and_b32_e32 v163, 0xffff, v163
	s_mov_b32 s11, 0x3fd3c6ef
	v_sub_nc_u16 v165, v144, v81
	v_and_b32_e32 v81, 0xff, v152
	v_lshrrev_b16 v166, 10, v80
	v_mad_u32_u24 v199, 0x190, v163, 0
	v_lshlrev_b32_sdwa v89, v88, v165 dst_sel:DWORD dst_unused:UNUSED_PAD src0_sel:DWORD src1_sel:BYTE_0
	v_mul_lo_u16 v80, 0xcd, v81
	v_mul_lo_u16 v81, v166, 5
	v_and_b32_e32 v171, 0xffff, v166
	v_lshlrev_b32_sdwa v202, v160, v165 dst_sel:DWORD dst_unused:UNUSED_PAD src0_sel:DWORD src1_sel:BYTE_0
	global_load_dwordx4 v[84:87], v89, s[8:9]
	v_lshrrev_b16 v167, 10, v80
	v_sub_nc_u16 v164, v146, v81
	s_clause 0x2
	global_load_dwordx4 v[80:83], v89, s[8:9] offset:16
	global_load_dwordx4 v[124:127], v89, s[8:9] offset:32
	;; [unrolled: 1-line block ×3, first 2 shown]
	v_mul_lo_u16 v91, v167, 5
	v_lshrrev_b32_e32 v89, 18, v90
	v_lshlrev_b32_sdwa v92, v88, v164 dst_sel:DWORD dst_unused:UNUSED_PAD src0_sel:DWORD src1_sel:BYTE_0
	v_and_b32_e32 v172, 0xffff, v167
	v_lshlrev_b32_sdwa v203, v160, v164 dst_sel:DWORD dst_unused:UNUSED_PAD src0_sel:DWORD src1_sel:BYTE_0
	v_sub_nc_u16 v168, v152, v91
	v_mul_lo_u16 v89, v89, 5
	s_clause 0x2
	global_load_dwordx4 v[116:119], v92, s[8:9]
	global_load_dwordx4 v[112:115], v92, s[8:9] offset:16
	global_load_dwordx4 v[96:99], v92, s[8:9] offset:32
	v_mad_u32_u24 v200, 0x190, v171, 0
	v_lshlrev_b32_sdwa v90, v88, v168 dst_sel:DWORD dst_unused:UNUSED_PAD src0_sel:DWORD src1_sel:BYTE_0
	v_sub_nc_u16 v162, v150, v89
	v_mad_u32_u24 v201, 0x190, v172, 0
	s_clause 0x3
	global_load_dwordx4 v[108:111], v92, s[8:9] offset:48
	global_load_dwordx4 v[104:107], v90, s[8:9]
	global_load_dwordx4 v[100:103], v90, s[8:9] offset:16
	global_load_dwordx4 v[92:95], v90, s[8:9] offset:32
	v_lshlrev_b32_sdwa v128, v88, v162 dst_sel:DWORD dst_unused:UNUSED_PAD src0_sel:DWORD src1_sel:WORD_0
	s_clause 0x4
	global_load_dwordx4 v[88:91], v90, s[8:9] offset:48
	global_load_dwordx4 v[140:143], v128, s[8:9]
	global_load_dwordx4 v[136:139], v128, s[8:9] offset:16
	global_load_dwordx4 v[132:135], v128, s[8:9] offset:32
	;; [unrolled: 1-line block ×3, first 2 shown]
	v_lshlrev_b32_sdwa v204, v160, v168 dst_sel:DWORD dst_unused:UNUSED_PAD src0_sel:DWORD src1_sel:BYTE_0
	s_waitcnt vmcnt(0) lgkmcnt(0)
	s_barrier
	buffer_gl0_inv
	v_mul_f64 v[169:170], v[78:79], v[86:87]
	v_mul_f64 v[86:87], v[76:77], v[86:87]
	;; [unrolled: 1-line block ×13, first 2 shown]
	v_fma_f64 v[76:77], v[76:77], v[84:85], -v[169:170]
	v_fma_f64 v[78:79], v[78:79], v[84:85], v[86:87]
	v_mul_f64 v[84:85], v[56:57], v[98:99]
	v_mul_f64 v[86:87], v[34:35], v[110:111]
	v_mul_f64 v[98:99], v[32:33], v[110:111]
	v_mul_f64 v[110:111], v[42:43], v[106:107]
	v_fma_f64 v[68:69], v[68:69], v[80:81], -v[166:167]
	v_fma_f64 v[70:71], v[70:71], v[80:81], v[82:83]
	v_mul_f64 v[80:81], v[40:41], v[106:107]
	v_mul_f64 v[82:83], v[46:47], v[102:103]
	v_mul_f64 v[102:103], v[44:45], v[102:103]
	v_mul_f64 v[106:107], v[50:51], v[94:95]
	;; [unrolled: 6-line block ×4, first 2 shown]
	v_fma_f64 v[60:61], v[60:61], v[116:117], -v[173:174]
	v_fma_f64 v[62:63], v[62:63], v[116:117], v[118:119]
	v_mul_f64 v[116:117], v[16:17], v[134:135]
	v_mul_f64 v[118:119], v[26:27], v[130:131]
	;; [unrolled: 1-line block ×3, first 2 shown]
	v_fma_f64 v[40:41], v[40:41], v[104:105], -v[110:111]
	v_fma_f64 v[42:43], v[42:43], v[104:105], v[80:81]
	v_fma_f64 v[44:45], v[44:45], v[100:101], -v[82:83]
	v_fma_f64 v[46:47], v[46:47], v[100:101], v[102:103]
	v_fma_f64 v[80:81], v[48:49], v[92:93], -v[106:107]
	v_fma_f64 v[134:135], v[36:37], v[112:113], -v[175:176]
	v_fma_f64 v[112:113], v[38:39], v[112:113], v[114:115]
	v_fma_f64 v[82:83], v[50:51], v[92:93], v[94:95]
	v_fma_f64 v[92:93], v[52:53], v[88:89], -v[124:125]
	v_fma_f64 v[56:57], v[56:57], v[96:97], -v[177:178]
	v_fma_f64 v[58:59], v[58:59], v[96:97], v[84:85]
	v_fma_f64 v[84:85], v[32:33], v[108:109], -v[86:87]
	v_fma_f64 v[86:87], v[34:35], v[108:109], v[98:99]
	v_fma_f64 v[88:89], v[54:55], v[88:89], v[90:91]
	v_fma_f64 v[36:37], v[0:1], v[140:141], -v[126:127]
	v_fma_f64 v[38:39], v[2:3], v[140:141], v[120:121]
	v_fma_f64 v[32:33], v[12:13], v[136:137], -v[122:123]
	;; [unrolled: 2-line block ×4, first 2 shown]
	v_fma_f64 v[14:15], v[26:27], v[128:129], v[130:131]
	v_add_f64 v[0:1], v[28:29], v[76:77]
	v_add_f64 v[2:3], v[68:69], v[72:73]
	;; [unrolled: 1-line block ×3, first 2 shown]
	v_add_f64 v[50:51], v[68:69], -v[76:77]
	v_add_f64 v[52:53], v[72:73], -v[64:65]
	v_add_f64 v[54:55], v[30:31], v[78:79]
	v_add_f64 v[96:97], v[70:71], v[74:75]
	v_add_f64 v[100:101], v[78:79], -v[70:71]
	v_add_f64 v[102:103], v[66:67], -v[74:75]
	v_add_f64 v[104:105], v[78:79], v[66:67]
	v_add_f64 v[163:164], v[44:45], v[80:81]
	;; [unrolled: 1-line block ×4, first 2 shown]
	v_add_f64 v[90:91], v[78:79], -v[66:67]
	v_add_f64 v[94:95], v[70:71], -v[74:75]
	;; [unrolled: 1-line block ×6, first 2 shown]
	v_add_f64 v[108:109], v[20:21], v[60:61]
	v_add_f64 v[110:111], v[134:135], v[56:57]
	v_add_f64 v[114:115], v[62:63], -v[86:87]
	v_add_f64 v[118:119], v[60:61], -v[134:135]
	;; [unrolled: 1-line block ×3, first 2 shown]
	v_add_f64 v[122:123], v[60:61], v[84:85]
	v_add_f64 v[124:125], v[134:135], -v[60:61]
	v_add_f64 v[126:127], v[56:57], -v[84:85]
	v_add_f64 v[128:129], v[22:23], v[62:63]
	v_add_f64 v[130:131], v[112:113], v[58:59]
	v_add_f64 v[136:137], v[62:63], -v[112:113]
	v_add_f64 v[138:139], v[62:63], v[86:87]
	v_add_f64 v[140:141], v[86:87], -v[58:59]
	v_add_f64 v[62:63], v[112:113], -v[62:63]
	;; [unrolled: 1-line block ×3, first 2 shown]
	v_add_f64 v[169:170], v[42:43], v[88:89]
	v_add_f64 v[171:172], v[4:5], v[40:41]
	v_add_f64 v[173:174], v[42:43], -v[88:89]
	v_add_f64 v[175:176], v[40:41], -v[44:45]
	;; [unrolled: 1-line block ×3, first 2 shown]
	v_add_f64 v[183:184], v[6:7], v[42:43]
	v_add_f64 v[185:186], v[42:43], -v[46:47]
	v_add_f64 v[42:43], v[46:47], -v[42:43]
	v_fma_f64 v[2:3], v[2:3], -0.5, v[28:29]
	v_fma_f64 v[189:190], v[48:49], -0.5, v[28:29]
	;; [unrolled: 1-line block ×4, first 2 shown]
	v_add_f64 v[28:29], v[82:83], -v[88:89]
	v_add_f64 v[30:31], v[32:33], v[16:17]
	v_add_f64 v[48:49], v[36:37], -v[32:33]
	v_add_f64 v[191:192], v[12:13], -v[16:17]
	v_fma_f64 v[163:164], v[163:164], -0.5, v[4:5]
	v_fma_f64 v[4:5], v[165:166], -0.5, v[4:5]
	;; [unrolled: 1-line block ×3, first 2 shown]
	v_add_f64 v[167:168], v[36:37], v[12:13]
	v_add_f64 v[0:1], v[0:1], v[68:69]
	;; [unrolled: 1-line block ×4, first 2 shown]
	v_add_f64 v[50:51], v[38:39], -v[34:35]
	v_add_f64 v[52:53], v[54:55], v[70:71]
	v_add_f64 v[54:55], v[14:15], -v[18:19]
	v_add_f64 v[70:71], v[100:101], v[102:103]
	v_add_f64 v[100:101], v[38:39], v[14:15]
	v_add_f64 v[76:77], v[76:77], -v[64:65]
	v_add_f64 v[98:99], v[68:69], -v[72:73]
	;; [unrolled: 1-line block ×8, first 2 shown]
	v_fma_f64 v[110:111], v[110:111], -0.5, v[20:21]
	v_fma_f64 v[122:123], v[122:123], -0.5, v[20:21]
	;; [unrolled: 1-line block ×5, first 2 shown]
	v_add_f64 v[169:170], v[32:33], -v[36:37]
	v_add_f64 v[68:69], v[16:17], -v[12:13]
	v_add_f64 v[193:194], v[24:25], v[26:27]
	v_add_f64 v[78:79], v[78:79], v[106:107]
	v_add_f64 v[102:103], v[34:35], -v[38:39]
	v_add_f64 v[106:107], v[108:109], v[134:135]
	v_add_f64 v[108:109], v[18:19], -v[14:15]
	;; [unrolled: 2-line block ×3, first 2 shown]
	v_add_f64 v[134:135], v[40:41], -v[92:93]
	v_add_f64 v[124:125], v[124:125], v[126:127]
	v_add_f64 v[126:127], v[44:45], -v[80:81]
	v_add_f64 v[112:113], v[128:129], v[112:113]
	;; [unrolled: 2-line block ×6, first 2 shown]
	v_add_f64 v[171:172], v[183:184], v[46:47]
	v_add_f64 v[177:178], v[42:43], v[28:29]
	v_fma_f64 v[26:27], v[30:31], -0.5, v[8:9]
	v_add_f64 v[28:29], v[48:49], v[191:192]
	v_fma_f64 v[44:45], v[167:168], -0.5, v[8:9]
	v_fma_f64 v[48:49], v[195:196], -0.5, v[10:11]
	v_add_f64 v[42:43], v[50:51], v[54:55]
	v_fma_f64 v[50:51], v[100:101], -0.5, v[10:11]
	v_add_f64 v[0:1], v[0:1], v[72:73]
	v_add_f64 v[142:143], v[179:180], v[181:182]
	;; [unrolled: 1-line block ×5, first 2 shown]
	v_fma_f64 v[68:69], v[90:91], s[4:5], v[2:3]
	v_fma_f64 v[2:3], v[90:91], s[14:15], v[2:3]
	v_fma_f64 v[72:73], v[94:95], s[14:15], v[189:190]
	v_fma_f64 v[100:101], v[94:95], s[4:5], v[189:190]
	v_add_f64 v[54:55], v[52:53], v[74:75]
	v_fma_f64 v[74:75], v[76:77], s[14:15], v[96:97]
	v_fma_f64 v[96:97], v[76:77], s[4:5], v[96:97]
	v_fma_f64 v[102:103], v[98:99], s[4:5], v[104:105]
	v_fma_f64 v[104:105], v[98:99], s[14:15], v[104:105]
	v_add_f64 v[56:57], v[106:107], v[56:57]
	;; [unrolled: 5-line block ×5, first 2 shown]
	v_fma_f64 v[171:172], v[134:135], s[14:15], v[165:166]
	v_fma_f64 v[165:166], v[134:135], s[4:5], v[165:166]
	;; [unrolled: 1-line block ×7, first 2 shown]
	v_add_f64 v[52:53], v[0:1], v[64:65]
	v_fma_f64 v[0:1], v[40:41], s[4:5], v[50:51]
	v_add_f64 v[54:55], v[54:55], v[66:67]
	v_fma_f64 v[64:65], v[94:95], s[6:7], v[68:69]
	v_fma_f64 v[2:3], v[94:95], s[12:13], v[2:3]
	;; [unrolled: 1-line block ×8, first 2 shown]
	v_add_f64 v[56:57], v[56:57], v[84:85]
	v_fma_f64 v[84:85], v[116:117], s[6:7], v[106:107]
	v_fma_f64 v[100:101], v[116:117], s[12:13], v[108:109]
	;; [unrolled: 1-line block ×4, first 2 shown]
	v_add_f64 v[58:59], v[58:59], v[86:87]
	v_fma_f64 v[86:87], v[132:133], s[12:13], v[112:113]
	v_fma_f64 v[106:107], v[132:133], s[6:7], v[130:131]
	;; [unrolled: 1-line block ×26, first 2 shown]
	v_add_f64 v[60:61], v[62:63], v[92:93]
	v_add_f64 v[62:63], v[82:83], v[88:89]
	v_fma_f64 v[108:109], v[142:143], s[10:11], v[4:5]
	v_fma_f64 v[80:81], v[118:119], s[10:11], v[84:85]
	;; [unrolled: 1-line block ×18, first 2 shown]
	v_add3_u32 v112, v199, v202, v156
	v_add3_u32 v113, v200, v203, v156
	v_add3_u32 v114, v201, v204, v156
	ds_write_b128 v112, v[52:55]
	ds_write_b128 v112, v[64:67] offset:80
	ds_write_b128 v112, v[72:75] offset:160
	ds_write_b128 v112, v[76:79] offset:240
	ds_write_b128 v112, v[68:71] offset:320
	ds_write_b128 v113, v[56:59]
	ds_write_b128 v113, v[80:83] offset:80
	ds_write_b128 v113, v[88:91] offset:160
	ds_write_b128 v113, v[92:95] offset:240
	ds_write_b128 v113, v[84:87] offset:320
	;; [unrolled: 5-line block ×3, first 2 shown]
	s_and_saveexec_b32 s1, s0
	s_cbranch_execz .LBB0_18
; %bb.17:
	v_add_f64 v[10:11], v[10:11], v[38:39]
	v_add_f64 v[8:9], v[8:9], v[36:37]
	v_mul_f64 v[52:53], v[40:41], s[4:5]
	v_mul_f64 v[36:37], v[22:23], s[4:5]
	;; [unrolled: 1-line block ×10, first 2 shown]
	v_add_f64 v[10:11], v[10:11], v[34:35]
	v_add_f64 v[8:9], v[8:9], v[32:33]
	v_add_f64 v[50:51], v[50:51], -v[52:53]
	v_add_f64 v[32:33], v[36:37], v[44:45]
	v_add_f64 v[48:49], v[48:49], v[54:55]
	v_add_f64 v[26:27], v[26:27], -v[38:39]
	v_mul_f64 v[36:37], v[46:47], s[10:11]
	v_mul_f64 v[34:35], v[42:43], s[10:11]
	v_add_f64 v[18:19], v[10:11], v[18:19]
	v_add_f64 v[8:9], v[8:9], v[16:17]
	v_add_f64 v[24:25], v[24:25], v[50:51]
	v_add_f64 v[32:33], v[32:33], -v[20:21]
	v_add_f64 v[38:39], v[40:41], v[48:49]
	v_add_f64 v[22:23], v[26:27], -v[22:23]
	v_and_b32_e32 v10, 0xff, v150
	v_mul_lo_u16 v10, 0xcd, v10
	v_lshrrev_b16 v26, 10, v10
	v_add_f64 v[20:21], v[18:19], v[14:15]
	v_add_f64 v[18:19], v[8:9], v[12:13]
	;; [unrolled: 1-line block ×6, first 2 shown]
	v_and_b32_e32 v12, 0xffff, v26
	v_lshlrev_b32_sdwa v13, v160, v162 dst_sel:DWORD dst_unused:UNUSED_PAD src0_sel:DWORD src1_sel:WORD_0
	v_mad_u32_u24 v12, 0x190, v12, 0
	v_add3_u32 v12, v12, v13, v156
	ds_write_b128 v12, v[0:3] offset:80
	ds_write_b128 v12, v[4:7] offset:160
	ds_write_b128 v12, v[18:21]
	ds_write_b128 v12, v[8:11] offset:240
	ds_write_b128 v12, v[14:17] offset:320
.LBB0_18:
	s_or_b32 exec_lo, exec_lo, s1
	v_mul_lo_u16 v8, v161, 41
	v_mov_b32_e32 v10, 15
	s_waitcnt lgkmcnt(0)
	s_barrier
	buffer_gl0_inv
	v_lshrrev_b16 v8, 10, v8
	v_add3_u32 v75, 0, v159, v156
	s_mov_b32 s0, 0x667f3bcd
	s_mov_b32 s1, 0xbfe6a09e
	s_mov_b32 s5, 0x3fe6a09e
	v_mul_lo_u16 v9, v8, 25
	s_mov_b32 s4, s0
	s_mov_b32 s6, 0xcf328d46
	;; [unrolled: 1-line block ×4, first 2 shown]
	v_sub_nc_u16 v12, v144, v9
	s_mov_b32 s14, s6
	s_mov_b32 s10, 0xa6aea964
	s_mov_b32 s11, 0xbfd87de2
	s_mov_b32 s13, 0x3fd87de2
	v_mul_u32_u24_sdwa v9, v12, v10 dst_sel:DWORD dst_unused:UNUSED_PAD src0_sel:BYTE_0 src1_sel:DWORD
	s_mov_b32 s12, s10
	v_lshlrev_b32_sdwa v12, v160, v12 dst_sel:DWORD dst_unused:UNUSED_PAD src0_sel:DWORD src1_sel:BYTE_0
	v_lshlrev_b32_e32 v9, 4, v9
	s_clause 0xe
	global_load_dwordx4 v[13:16], v9, s[8:9] offset:320
	global_load_dwordx4 v[17:20], v9, s[8:9] offset:336
	;; [unrolled: 1-line block ×15, first 2 shown]
	ds_read_b128 v[76:79], v158
	ds_read_b128 v[80:83], v157
	;; [unrolled: 1-line block ×3, first 2 shown]
	ds_read_b128 v[88:91], v145 offset:4800
	ds_read_b128 v[92:95], v145 offset:6000
	ds_read_b128 v[96:99], v154
	ds_read_b128 v[100:103], v145 offset:7200
	ds_read_b128 v[104:107], v145 offset:8400
	;; [unrolled: 1-line block ×10, first 2 shown]
	s_waitcnt vmcnt(0) lgkmcnt(0)
	s_barrier
	buffer_gl0_inv
	v_mul_f64 v[9:10], v[78:79], v[15:16]
	v_mul_f64 v[15:16], v[76:77], v[15:16]
	;; [unrolled: 1-line block ×30, first 2 shown]
	v_fma_f64 v[9:10], v[76:77], v[13:14], -v[9:10]
	v_fma_f64 v[13:14], v[78:79], v[13:14], v[15:16]
	v_fma_f64 v[15:16], v[80:81], v[17:18], -v[73:74]
	v_fma_f64 v[17:18], v[82:83], v[17:18], v[19:20]
	;; [unrolled: 2-line block ×14, first 2 shown]
	v_fma_f64 v[55:56], v[138:139], v[69:70], v[71:72]
	v_fma_f64 v[69:70], v[136:137], v[69:70], -v[181:182]
	v_and_b32_e32 v104, 0xffff, v8
	v_add_f64 v[39:40], v[96:97], -v[39:40]
	v_add_f64 v[41:42], v[98:99], -v[41:42]
	;; [unrolled: 1-line block ×16, first 2 shown]
	v_fma_f64 v[71:72], v[96:97], 2.0, -v[39:40]
	v_fma_f64 v[73:74], v[98:99], 2.0, -v[41:42]
	v_fma_f64 v[23:24], v[23:24], 2.0, -v[43:44]
	v_add_f64 v[76:77], v[39:40], -v[57:58]
	v_add_f64 v[43:44], v[41:42], v[43:44]
	v_fma_f64 v[25:26], v[25:26], 2.0, -v[57:58]
	v_add_f64 v[80:81], v[49:50], v[51:52]
	v_add_f64 v[78:79], v[59:60], -v[65:66]
	v_fma_f64 v[15:16], v[15:16], 2.0, -v[59:60]
	v_fma_f64 v[17:18], v[17:18], 2.0, -v[49:50]
	v_add_f64 v[84:85], v[45:46], v[47:48]
	v_add_f64 v[82:83], v[67:68], -v[61:62]
	v_fma_f64 v[31:32], v[31:32], 2.0, -v[51:52]
	v_fma_f64 v[33:34], v[33:34], 2.0, -v[65:66]
	v_add_f64 v[86:87], v[63:64], -v[55:56]
	v_add_f64 v[88:89], v[53:54], v[69:70]
	v_fma_f64 v[9:10], v[9:10], 2.0, -v[67:68]
	v_fma_f64 v[13:14], v[13:14], 2.0, -v[45:46]
	;; [unrolled: 1-line block ×8, first 2 shown]
	v_add_f64 v[23:24], v[71:72], -v[23:24]
	v_fma_f64 v[39:40], v[39:40], 2.0, -v[76:77]
	v_fma_f64 v[41:42], v[41:42], 2.0, -v[43:44]
	v_add_f64 v[25:26], v[73:74], -v[25:26]
	v_fma_f64 v[49:50], v[49:50], 2.0, -v[80:81]
	v_fma_f64 v[47:48], v[59:60], 2.0, -v[78:79]
	v_fma_f64 v[57:58], v[78:79], s[4:5], v[76:77]
	v_fma_f64 v[59:60], v[80:81], s[4:5], v[43:44]
	v_fma_f64 v[45:46], v[45:46], 2.0, -v[84:85]
	v_fma_f64 v[51:52], v[67:68], 2.0, -v[82:83]
	v_add_f64 v[31:32], v[15:16], -v[31:32]
	v_add_f64 v[33:34], v[17:18], -v[33:34]
	v_fma_f64 v[55:56], v[63:64], 2.0, -v[86:87]
	v_fma_f64 v[53:54], v[53:54], 2.0, -v[88:89]
	v_fma_f64 v[61:62], v[86:87], s[4:5], v[82:83]
	v_fma_f64 v[63:64], v[88:89], s[4:5], v[84:85]
	v_add_f64 v[27:28], v[9:10], -v[27:28]
	v_add_f64 v[29:30], v[13:14], -v[29:30]
	;; [unrolled: 1-line block ×4, first 2 shown]
	v_fma_f64 v[71:72], v[71:72], 2.0, -v[23:24]
	v_fma_f64 v[73:74], v[73:74], 2.0, -v[25:26]
	v_fma_f64 v[67:68], v[49:50], s[0:1], v[41:42]
	v_fma_f64 v[65:66], v[47:48], s[0:1], v[39:40]
	;; [unrolled: 1-line block ×4, first 2 shown]
	v_fma_f64 v[15:16], v[15:16], 2.0, -v[31:32]
	v_fma_f64 v[17:18], v[17:18], 2.0, -v[33:34]
	v_fma_f64 v[69:70], v[55:56], s[0:1], v[51:52]
	v_fma_f64 v[90:91], v[53:54], s[0:1], v[45:46]
	v_add_f64 v[92:93], v[23:24], -v[33:34]
	v_add_f64 v[94:95], v[25:26], v[31:32]
	v_fma_f64 v[9:10], v[9:10], 2.0, -v[27:28]
	v_fma_f64 v[13:14], v[13:14], 2.0, -v[29:30]
	;; [unrolled: 1-line block ×4, first 2 shown]
	v_add_f64 v[31:32], v[27:28], -v[37:38]
	v_add_f64 v[33:34], v[29:30], v[35:36]
	v_fma_f64 v[35:36], v[88:89], s[0:1], v[61:62]
	v_fma_f64 v[37:38], v[86:87], s[4:5], v[63:64]
	;; [unrolled: 1-line block ×6, first 2 shown]
	v_add_f64 v[53:54], v[71:72], -v[15:16]
	v_add_f64 v[55:56], v[73:74], -v[17:18]
	v_fma_f64 v[61:62], v[23:24], 2.0, -v[92:93]
	v_fma_f64 v[63:64], v[25:26], 2.0, -v[94:95]
	;; [unrolled: 1-line block ×4, first 2 shown]
	v_add_f64 v[15:16], v[9:10], -v[19:20]
	v_add_f64 v[17:18], v[13:14], -v[21:22]
	v_fma_f64 v[27:28], v[27:28], 2.0, -v[31:32]
	v_fma_f64 v[25:26], v[29:30], 2.0, -v[33:34]
	;; [unrolled: 1-line block ×6, first 2 shown]
	v_fma_f64 v[19:20], v[31:32], s[4:5], v[92:93]
	v_fma_f64 v[21:22], v[33:34], s[4:5], v[94:95]
	;; [unrolled: 1-line block ×3, first 2 shown]
	v_fma_f64 v[39:40], v[51:52], 2.0, -v[47:48]
	v_fma_f64 v[41:42], v[45:46], 2.0, -v[49:50]
	v_fma_f64 v[45:46], v[37:38], s[14:15], v[59:60]
	v_fma_f64 v[71:72], v[71:72], 2.0, -v[53:54]
	v_fma_f64 v[73:74], v[73:74], 2.0, -v[55:56]
	v_fma_f64 v[96:97], v[47:48], s[12:13], v[65:66]
	v_fma_f64 v[98:99], v[49:50], s[12:13], v[67:68]
	v_fma_f64 v[51:52], v[9:10], 2.0, -v[15:16]
	v_fma_f64 v[82:83], v[13:14], 2.0, -v[17:18]
	v_fma_f64 v[84:85], v[27:28], s[0:1], v[61:62]
	v_fma_f64 v[86:87], v[25:26], s[0:1], v[63:64]
	v_fma_f64 v[88:89], v[43:44], s[10:11], v[69:70]
	v_fma_f64 v[90:91], v[29:30], s[10:11], v[76:77]
	v_add_f64 v[13:14], v[53:54], -v[17:18]
	v_add_f64 v[15:16], v[55:56], v[15:16]
	v_fma_f64 v[17:18], v[33:34], s[0:1], v[19:20]
	v_fma_f64 v[19:20], v[31:32], s[4:5], v[21:22]
	;; [unrolled: 1-line block ×8, first 2 shown]
	v_add_f64 v[21:22], v[71:72], -v[51:52]
	v_add_f64 v[23:24], v[73:74], -v[82:83]
	v_fma_f64 v[25:26], v[25:26], s[0:1], v[84:85]
	v_fma_f64 v[27:28], v[27:28], s[4:5], v[86:87]
	;; [unrolled: 1-line block ×4, first 2 shown]
	v_mad_u32_u24 v82, 0x1900, v104, 0
	v_fma_f64 v[43:44], v[55:56], 2.0, -v[15:16]
	v_fma_f64 v[45:46], v[92:93], 2.0, -v[17:18]
	;; [unrolled: 1-line block ×4, first 2 shown]
	v_add3_u32 v12, v82, v12, v156
	v_cmp_gt_u32_e64 s0, 25, v144
	v_fma_f64 v[37:38], v[41:42], s[10:11], v[100:101]
	v_fma_f64 v[39:40], v[39:40], s[12:13], v[102:103]
	v_fma_f64 v[41:42], v[53:54], 2.0, -v[13:14]
	v_fma_f64 v[51:52], v[59:60], 2.0, -v[10:11]
	;; [unrolled: 1-line block ×12, first 2 shown]
	ds_write_b128 v12, v[13:16] offset:4800
	ds_write_b128 v12, v[17:20] offset:5600
	;; [unrolled: 1-line block ×10, first 2 shown]
	ds_write_b128 v12, v[53:56]
	ds_write_b128 v12, v[57:60] offset:800
	ds_write_b128 v12, v[61:64] offset:1200
	ds_write_b128 v12, v[65:68] offset:2000
	ds_write_b128 v12, v[37:40] offset:3600
	ds_write_b128 v12, v[69:72] offset:400
	s_waitcnt lgkmcnt(0)
	s_barrier
	buffer_gl0_inv
	ds_read_b128 v[64:67], v145 offset:6400
	ds_read_b128 v[36:39], v145 offset:7600
	ds_read_b128 v[24:27], v158
	ds_read_b128 v[12:15], v157
	ds_read_b128 v[52:55], v145 offset:14000
	ds_read_b128 v[32:35], v145 offset:15200
	ds_read_b128 v[16:19], v75
	ds_read_b128 v[56:59], v145 offset:8800
	ds_read_b128 v[40:43], v145 offset:10000
	;; [unrolled: 3-line block ×3, first 2 shown]
	ds_read_b128 v[44:47], v145 offset:11200
	ds_read_b128 v[60:63], v145 offset:16400
	;; [unrolled: 1-line block ×3, first 2 shown]
	s_and_saveexec_b32 s1, s0
	s_cbranch_execz .LBB0_20
; %bb.19:
	ds_read_b128 v[8:11], v145 offset:6000
	ds_read_b128 v[0:3], v145 offset:12400
	;; [unrolled: 1-line block ×3, first 2 shown]
.LBB0_20:
	s_or_b32 exec_lo, exec_lo, s1
	v_lshlrev_b32_e32 v73, 1, v144
	v_mov_b32_e32 v74, 0
	s_mov_b32 s4, 0xe8584caa
	s_mov_b32 s5, 0x3febb67a
	;; [unrolled: 1-line block ×4, first 2 shown]
	v_lshlrev_b64 v[72:73], 4, v[73:74]
	v_add_co_u32 v72, s1, s8, v72
	v_add_co_ci_u32_e64 v78, s1, s9, v73, s1
	v_lshlrev_b32_e32 v73, 1, v146
	v_add_co_u32 v76, s1, 0x1800, v72
	v_add_co_ci_u32_e64 v77, s1, 0, v78, s1
	v_lshlrev_b64 v[84:85], 4, v[73:74]
	v_add_co_u32 v80, s1, 0x18b0, v72
	v_lshlrev_b32_e32 v73, 1, v152
	v_add_co_ci_u32_e64 v81, s1, 0, v78, s1
	v_add_co_u32 v86, s1, s8, v84
	v_add_co_ci_u32_e64 v87, s1, s9, v85, s1
	v_lshlrev_b64 v[84:85], 4, v[73:74]
	v_add_co_u32 v88, s1, 0x18b0, v86
	v_add_co_ci_u32_e64 v89, s1, 0, v87, s1
	v_lshlrev_b32_e32 v73, 1, v150
	v_add_co_u32 v90, s1, s8, v84
	v_add_co_ci_u32_e64 v91, s1, s9, v85, s1
	v_add_co_u32 v84, s1, 0x1800, v86
	v_add_co_ci_u32_e64 v85, s1, 0, v87, s1
	v_add_co_u32 v92, s1, 0x1800, v90
	v_lshlrev_b64 v[100:101], 4, v[73:74]
	v_add_nc_u32_e32 v72, 0x12c, v144
	v_add_co_ci_u32_e64 v93, s1, 0, v91, s1
	v_add_co_u32 v96, s1, 0x18b0, v90
	v_add_co_ci_u32_e64 v97, s1, 0, v91, s1
	v_add_co_u32 v102, s1, s8, v100
	v_lshlrev_b32_e32 v73, 1, v72
	v_add_co_ci_u32_e64 v103, s1, s9, v101, s1
	v_add_co_u32 v104, s1, 0x18b0, v102
	v_lshlrev_b64 v[100:101], 4, v[73:74]
	v_add_co_ci_u32_e64 v105, s1, 0, v103, s1
	v_add_co_u32 v102, s1, 0x1800, v102
	v_add_co_ci_u32_e64 v103, s1, 0, v103, s1
	v_add_co_u32 v73, s1, s8, v100
	s_clause 0x1
	global_load_dwordx4 v[76:79], v[76:77], off offset:176
	global_load_dwordx4 v[80:83], v[80:81], off offset:16
	v_add_co_ci_u32_e64 v106, s1, s9, v101, s1
	v_add_co_u32 v108, s1, 0x1800, v73
	s_clause 0x3
	global_load_dwordx4 v[84:87], v[84:85], off offset:176
	global_load_dwordx4 v[88:91], v[88:89], off offset:16
	global_load_dwordx4 v[92:95], v[92:93], off offset:176
	global_load_dwordx4 v[96:99], v[96:97], off offset:16
	v_add_co_ci_u32_e64 v109, s1, 0, v106, s1
	v_add_co_u32 v112, s1, 0x18b0, v73
	v_add_co_ci_u32_e64 v113, s1, 0, v106, s1
	s_clause 0x3
	global_load_dwordx4 v[100:103], v[102:103], off offset:176
	global_load_dwordx4 v[104:107], v[104:105], off offset:16
	;; [unrolled: 1-line block ×4, first 2 shown]
	s_waitcnt vmcnt(0) lgkmcnt(0)
	s_barrier
	buffer_gl0_inv
	v_mul_f64 v[116:117], v[66:67], v[78:79]
	v_mul_f64 v[78:79], v[64:65], v[78:79]
	;; [unrolled: 1-line block ×20, first 2 shown]
	v_fma_f64 v[64:65], v[64:65], v[76:77], -v[116:117]
	v_fma_f64 v[66:67], v[66:67], v[76:77], v[78:79]
	v_fma_f64 v[68:69], v[68:69], v[80:81], -v[118:119]
	v_fma_f64 v[70:71], v[70:71], v[80:81], v[82:83]
	;; [unrolled: 2-line block ×6, first 2 shown]
	v_fma_f64 v[60:61], v[60:61], v[104:105], -v[130:131]
	v_fma_f64 v[40:41], v[40:41], v[100:101], -v[128:129]
	v_fma_f64 v[42:43], v[42:43], v[100:101], v[102:103]
	v_fma_f64 v[62:63], v[62:63], v[104:105], v[106:107]
	v_fma_f64 v[44:45], v[44:45], v[108:109], -v[132:133]
	v_fma_f64 v[46:47], v[46:47], v[108:109], v[110:111]
	v_fma_f64 v[48:49], v[48:49], v[112:113], -v[134:135]
	v_fma_f64 v[50:51], v[50:51], v[112:113], v[114:115]
	v_add_f64 v[76:77], v[28:29], v[64:65]
	v_add_f64 v[82:83], v[30:31], v[66:67]
	v_add_f64 v[78:79], v[64:65], v[68:69]
	v_add_f64 v[80:81], v[66:67], -v[70:71]
	v_add_f64 v[66:67], v[66:67], v[70:71]
	v_add_f64 v[90:91], v[26:27], v[38:39]
	v_add_f64 v[86:87], v[36:37], v[52:53]
	v_add_f64 v[88:89], v[38:39], -v[54:55]
	;; [unrolled: 4-line block ×3, first 2 shown]
	v_add_f64 v[58:59], v[58:59], v[34:35]
	v_add_f64 v[84:85], v[24:25], v[36:37]
	v_add_f64 v[92:93], v[36:37], -v[52:53]
	v_add_f64 v[36:37], v[12:13], v[56:57]
	v_add_f64 v[100:101], v[56:57], -v[32:33]
	v_add_f64 v[56:57], v[40:41], v[60:61]
	v_add_f64 v[104:105], v[42:43], v[62:63]
	;; [unrolled: 1-line block ×4, first 2 shown]
	v_add_f64 v[64:65], v[64:65], -v[68:69]
	v_add_f64 v[114:115], v[22:23], v[46:47]
	v_add_f64 v[116:117], v[46:47], -v[50:51]
	v_fma_f64 v[78:79], v[78:79], -0.5, v[28:29]
	v_add_f64 v[102:103], v[16:17], v[40:41]
	v_fma_f64 v[46:47], v[66:67], -0.5, v[30:31]
	v_add_f64 v[106:107], v[42:43], -v[62:63]
	v_add_f64 v[42:43], v[18:19], v[42:43]
	v_add_f64 v[112:113], v[40:41], -v[60:61]
	v_add_f64 v[40:41], v[20:21], v[44:45]
	v_fma_f64 v[66:67], v[86:87], -0.5, v[24:25]
	v_add_f64 v[24:25], v[76:77], v[68:69]
	v_fma_f64 v[68:69], v[38:39], -0.5, v[26:27]
	;; [unrolled: 2-line block ×3, first 2 shown]
	v_fma_f64 v[58:59], v[58:59], -0.5, v[14:15]
	v_add_f64 v[118:119], v[44:45], -v[48:49]
	v_add_f64 v[28:29], v[84:85], v[52:53]
	v_fma_f64 v[76:77], v[56:57], -0.5, v[16:17]
	v_fma_f64 v[82:83], v[104:105], -0.5, v[18:19]
	;; [unrolled: 1-line block ×4, first 2 shown]
	v_add_f64 v[13:14], v[36:37], v[32:33]
	v_add_f64 v[30:31], v[90:91], v[54:55]
	;; [unrolled: 1-line block ×3, first 2 shown]
	v_fma_f64 v[36:37], v[80:81], s[4:5], v[78:79]
	v_add_f64 v[34:35], v[114:115], v[50:51]
	v_fma_f64 v[38:39], v[64:65], s[6:7], v[46:47]
	v_add_f64 v[17:18], v[102:103], v[60:61]
	v_add_f64 v[19:20], v[42:43], v[62:63]
	v_fma_f64 v[42:43], v[64:65], s[4:5], v[46:47]
	v_add_f64 v[32:33], v[40:41], v[48:49]
	v_fma_f64 v[40:41], v[80:81], s[6:7], v[78:79]
	v_fma_f64 v[44:45], v[88:89], s[4:5], v[66:67]
	;; [unrolled: 1-line block ×17, first 2 shown]
	v_add_nc_u32_e32 v12, 0x177, v144
	v_lshl_add_u32 v21, v151, 4, v153
	ds_write_b128 v145, v[24:27]
	ds_write_b128 v145, v[36:39] offset:6400
	ds_write_b128 v145, v[40:43] offset:12800
	ds_write_b128 v158, v[28:31]
	ds_write_b128 v158, v[44:47] offset:6400
	ds_write_b128 v158, v[48:51] offset:12800
	;; [unrolled: 3-line block ×4, first 2 shown]
	ds_write_b128 v145, v[32:35] offset:4800
	ds_write_b128 v21, v[68:71] offset:11200
	;; [unrolled: 1-line block ×3, first 2 shown]
	s_and_saveexec_b32 s1, s0
	s_cbranch_execz .LBB0_22
; %bb.21:
	v_subrev_nc_u32_e32 v13, 25, v144
	v_cndmask_b32_e64 v13, v13, v12, s0
	v_lshlrev_b32_e32 v73, 1, v13
	v_lshlrev_b64 v[13:14], 4, v[73:74]
	v_add_co_u32 v15, s0, s8, v13
	v_add_co_ci_u32_e64 v16, s0, s9, v14, s0
	v_add_co_u32 v13, s0, 0x1800, v15
	v_add_co_ci_u32_e64 v14, s0, 0, v16, s0
	;; [unrolled: 2-line block ×3, first 2 shown]
	s_clause 0x1
	global_load_dwordx4 v[13:16], v[13:14], off offset:176
	global_load_dwordx4 v[17:20], v[17:18], off offset:16
	s_waitcnt vmcnt(1)
	v_mul_f64 v[21:22], v[0:1], v[15:16]
	s_waitcnt vmcnt(0)
	v_mul_f64 v[23:24], v[4:5], v[19:20]
	v_mul_f64 v[15:16], v[2:3], v[15:16]
	;; [unrolled: 1-line block ×3, first 2 shown]
	v_fma_f64 v[2:3], v[2:3], v[13:14], v[21:22]
	v_fma_f64 v[6:7], v[6:7], v[17:18], v[23:24]
	v_fma_f64 v[0:1], v[0:1], v[13:14], -v[15:16]
	v_fma_f64 v[4:5], v[4:5], v[17:18], -v[19:20]
	v_add_f64 v[19:20], v[10:11], v[2:3]
	v_add_f64 v[13:14], v[2:3], v[6:7]
	;; [unrolled: 1-line block ×3, first 2 shown]
	v_add_f64 v[17:18], v[0:1], -v[4:5]
	v_add_f64 v[0:1], v[8:9], v[0:1]
	v_fma_f64 v[10:11], v[13:14], -0.5, v[10:11]
	v_add_f64 v[13:14], v[2:3], -v[6:7]
	v_fma_f64 v[15:16], v[15:16], -0.5, v[8:9]
	v_add_f64 v[2:3], v[19:20], v[6:7]
	v_add_f64 v[0:1], v[0:1], v[4:5]
	v_fma_f64 v[6:7], v[17:18], s[4:5], v[10:11]
	v_fma_f64 v[10:11], v[17:18], s[6:7], v[10:11]
	;; [unrolled: 1-line block ×4, first 2 shown]
	ds_write_b128 v145, v[0:3] offset:6000
	ds_write_b128 v145, v[8:11] offset:12400
	ds_write_b128 v145, v[4:7] offset:18800
.LBB0_22:
	s_or_b32 exec_lo, exec_lo, s1
	s_waitcnt lgkmcnt(0)
	s_barrier
	buffer_gl0_inv
	ds_read_b128 v[4:7], v154
	v_sub_nc_u32_e32 v14, v155, v147
	s_add_u32 s1, s8, 0x4ab0
	s_addc_u32 s4, s9, 0
	s_mov_b32 s5, exec_lo
                                        ; implicit-def: $vgpr0_vgpr1
                                        ; implicit-def: $vgpr8_vgpr9
                                        ; implicit-def: $vgpr10_vgpr11
	v_cmpx_ne_u32_e32 0, v144
	s_xor_b32 s5, exec_lo, s5
	s_cbranch_execz .LBB0_24
; %bb.23:
	v_mov_b32_e32 v145, 0
	v_lshlrev_b64 v[0:1], 4, v[144:145]
	v_add_co_u32 v0, s0, s1, v0
	v_add_co_ci_u32_e64 v1, s0, s4, v1, s0
	global_load_dwordx4 v[15:18], v[0:1], off
	ds_read_b128 v[0:3], v14 offset:19200
	s_waitcnt lgkmcnt(0)
	v_add_f64 v[8:9], v[4:5], -v[0:1]
	v_add_f64 v[10:11], v[6:7], v[2:3]
	v_add_f64 v[2:3], v[6:7], -v[2:3]
	v_add_f64 v[0:1], v[4:5], v[0:1]
	v_mul_f64 v[6:7], v[8:9], 0.5
	v_mul_f64 v[4:5], v[10:11], 0.5
	v_mul_f64 v[2:3], v[2:3], 0.5
	s_waitcnt vmcnt(0)
	v_mul_f64 v[8:9], v[6:7], v[17:18]
	v_fma_f64 v[10:11], v[4:5], v[17:18], v[2:3]
	v_fma_f64 v[2:3], v[4:5], v[17:18], -v[2:3]
	v_fma_f64 v[19:20], v[0:1], 0.5, v[8:9]
	v_fma_f64 v[0:1], v[0:1], 0.5, -v[8:9]
	v_fma_f64 v[10:11], -v[15:16], v[6:7], v[10:11]
	v_fma_f64 v[2:3], -v[15:16], v[6:7], v[2:3]
	v_fma_f64 v[8:9], v[4:5], v[15:16], v[19:20]
	v_fma_f64 v[0:1], -v[4:5], v[15:16], v[0:1]
                                        ; implicit-def: $vgpr4_vgpr5
.LBB0_24:
	s_andn2_saveexec_b32 s0, s5
	s_cbranch_execz .LBB0_26
; %bb.25:
	ds_read_b64 v[15:16], v155 offset:9608
	s_waitcnt lgkmcnt(1)
	v_add_f64 v[8:9], v[4:5], v[6:7]
	v_add_f64 v[0:1], v[4:5], -v[6:7]
	v_mov_b32_e32 v10, 0
	v_mov_b32_e32 v11, 0
	v_mov_b32_e32 v2, v10
	v_mov_b32_e32 v3, v11
	s_waitcnt lgkmcnt(0)
	v_xor_b32_e32 v16, 0x80000000, v16
	ds_write_b64 v155, v[15:16] offset:9608
.LBB0_26:
	s_or_b32 exec_lo, exec_lo, s0
	v_mov_b32_e32 v147, 0
	v_lshl_add_u32 v13, v146, 4, v155
	ds_write2_b64 v154, v[8:9], v[10:11] offset1:1
	ds_write_b128 v14, v[0:3] offset:19200
	v_lshl_add_u32 v27, v152, 4, v155
	s_waitcnt lgkmcnt(2)
	v_lshlrev_b64 v[4:5], 4, v[146:147]
	v_mov_b32_e32 v153, v147
	v_mov_b32_e32 v151, v147
	;; [unrolled: 1-line block ×3, first 2 shown]
	v_add_nc_u32_e32 v146, 0x1c2, v144
	v_lshlrev_b64 v[15:16], 4, v[152:153]
	v_add_co_u32 v4, s0, s1, v4
	v_add_co_ci_u32_e64 v5, s0, s4, v5, s0
	v_lshlrev_b64 v[19:20], 4, v[150:151]
	v_add_co_u32 v15, s0, s1, v15
	global_load_dwordx4 v[4:7], v[4:5], off
	v_add_co_ci_u32_e64 v16, s0, s4, v16, s0
	v_add_co_u32 v19, s0, s1, v19
	v_add_co_ci_u32_e64 v20, s0, s4, v20, s0
	global_load_dwordx4 v[15:18], v[15:16], off
	ds_read_b128 v[0:3], v13
	ds_read_b128 v[8:11], v14 offset:18000
	global_load_dwordx4 v[19:22], v[19:20], off
	s_waitcnt lgkmcnt(0)
	v_add_f64 v[23:24], v[0:1], -v[8:9]
	v_add_f64 v[25:26], v[2:3], v[10:11]
	v_add_f64 v[2:3], v[2:3], -v[10:11]
	v_add_f64 v[0:1], v[0:1], v[8:9]
	v_mul_f64 v[10:11], v[23:24], 0.5
	v_mul_f64 v[23:24], v[25:26], 0.5
	;; [unrolled: 1-line block ×3, first 2 shown]
	s_waitcnt vmcnt(2)
	v_mul_f64 v[8:9], v[10:11], v[6:7]
	v_fma_f64 v[25:26], v[23:24], v[6:7], v[2:3]
	v_fma_f64 v[2:3], v[23:24], v[6:7], -v[2:3]
	v_fma_f64 v[6:7], v[0:1], 0.5, v[8:9]
	v_fma_f64 v[0:1], v[0:1], 0.5, -v[8:9]
	v_fma_f64 v[8:9], -v[4:5], v[10:11], v[25:26]
	v_fma_f64 v[2:3], -v[4:5], v[10:11], v[2:3]
	v_lshlrev_b64 v[10:11], 4, v[72:73]
	v_fma_f64 v[6:7], v[23:24], v[4:5], v[6:7]
	v_fma_f64 v[0:1], -v[23:24], v[4:5], v[0:1]
	ds_write2_b64 v13, v[6:7], v[8:9] offset1:1
	ds_write_b128 v14, v[0:3] offset:18000
	v_add_co_u32 v8, s0, s1, v10
	ds_read_b128 v[0:3], v27
	ds_read_b128 v[4:7], v14 offset:16800
	v_add_co_ci_u32_e64 v9, s0, s4, v11, s0
	v_mov_b32_e32 v13, v147
	global_load_dwordx4 v[8:11], v[8:9], off
	v_lshlrev_b64 v[12:13], 4, v[12:13]
	v_add_co_u32 v12, s0, s1, v12
	v_add_co_ci_u32_e64 v13, s0, s4, v13, s0
	s_waitcnt lgkmcnt(0)
	v_add_f64 v[23:24], v[0:1], -v[4:5]
	v_add_f64 v[25:26], v[2:3], v[6:7]
	v_add_f64 v[2:3], v[2:3], -v[6:7]
	v_add_f64 v[0:1], v[0:1], v[4:5]
	v_mul_f64 v[6:7], v[23:24], 0.5
	v_mul_f64 v[23:24], v[25:26], 0.5
	;; [unrolled: 1-line block ×3, first 2 shown]
	s_waitcnt vmcnt(2)
	v_mul_f64 v[4:5], v[6:7], v[17:18]
	v_fma_f64 v[25:26], v[23:24], v[17:18], v[2:3]
	v_fma_f64 v[2:3], v[23:24], v[17:18], -v[2:3]
	v_fma_f64 v[17:18], v[0:1], 0.5, v[4:5]
	v_fma_f64 v[0:1], v[0:1], 0.5, -v[4:5]
	v_fma_f64 v[4:5], -v[15:16], v[6:7], v[25:26]
	v_fma_f64 v[2:3], -v[15:16], v[6:7], v[2:3]
	v_lshl_add_u32 v25, v150, 4, v155
	v_fma_f64 v[6:7], v[23:24], v[15:16], v[17:18]
	v_fma_f64 v[0:1], -v[23:24], v[15:16], v[0:1]
	ds_write2_b64 v27, v[6:7], v[4:5] offset1:1
	ds_write_b128 v14, v[0:3] offset:16800
	ds_read_b128 v[0:3], v25
	ds_read_b128 v[4:7], v14 offset:15600
	global_load_dwordx4 v[15:18], v[12:13], off
	s_waitcnt lgkmcnt(0)
	v_add_f64 v[12:13], v[0:1], -v[4:5]
	v_add_f64 v[23:24], v[2:3], v[6:7]
	v_add_f64 v[2:3], v[2:3], -v[6:7]
	v_add_f64 v[0:1], v[0:1], v[4:5]
	v_mul_f64 v[6:7], v[12:13], 0.5
	v_mul_f64 v[12:13], v[23:24], 0.5
	;; [unrolled: 1-line block ×3, first 2 shown]
	s_waitcnt vmcnt(2)
	v_mul_f64 v[4:5], v[6:7], v[21:22]
	v_fma_f64 v[23:24], v[12:13], v[21:22], v[2:3]
	v_fma_f64 v[2:3], v[12:13], v[21:22], -v[2:3]
	v_fma_f64 v[21:22], v[0:1], 0.5, v[4:5]
	v_fma_f64 v[0:1], v[0:1], 0.5, -v[4:5]
	v_fma_f64 v[4:5], -v[19:20], v[6:7], v[23:24]
	v_fma_f64 v[2:3], -v[19:20], v[6:7], v[2:3]
	v_fma_f64 v[6:7], v[12:13], v[19:20], v[21:22]
	v_fma_f64 v[0:1], -v[12:13], v[19:20], v[0:1]
	v_lshlrev_b64 v[12:13], 4, v[146:147]
	v_add_nc_u32_e32 v146, 0x20d, v144
	ds_write2_b64 v25, v[6:7], v[4:5] offset1:1
	ds_write_b128 v14, v[0:3] offset:15600
	v_add_co_u32 v12, s0, s1, v12
	ds_read_b128 v[0:3], v154 offset:4800
	ds_read_b128 v[4:7], v14 offset:14400
	v_add_co_ci_u32_e64 v13, s0, s4, v13, s0
	v_add_nc_u32_e32 v25, 0x1000, v154
	global_load_dwordx4 v[19:22], v[12:13], off
	s_waitcnt lgkmcnt(0)
	v_add_f64 v[12:13], v[0:1], -v[4:5]
	v_add_f64 v[23:24], v[2:3], v[6:7]
	v_add_f64 v[2:3], v[2:3], -v[6:7]
	v_add_f64 v[0:1], v[0:1], v[4:5]
	v_mul_f64 v[6:7], v[12:13], 0.5
	v_mul_f64 v[12:13], v[23:24], 0.5
	;; [unrolled: 1-line block ×3, first 2 shown]
	s_waitcnt vmcnt(2)
	v_mul_f64 v[4:5], v[6:7], v[10:11]
	v_fma_f64 v[23:24], v[12:13], v[10:11], v[2:3]
	v_fma_f64 v[2:3], v[12:13], v[10:11], -v[2:3]
	v_fma_f64 v[10:11], v[0:1], 0.5, v[4:5]
	v_fma_f64 v[0:1], v[0:1], 0.5, -v[4:5]
	v_fma_f64 v[4:5], -v[8:9], v[6:7], v[23:24]
	v_fma_f64 v[2:3], -v[8:9], v[6:7], v[2:3]
	v_fma_f64 v[6:7], v[12:13], v[8:9], v[10:11]
	v_fma_f64 v[0:1], -v[12:13], v[8:9], v[0:1]
	v_lshlrev_b64 v[8:9], 4, v[146:147]
	ds_write2_b64 v25, v[6:7], v[4:5] offset0:88 offset1:89
	ds_write_b128 v14, v[0:3] offset:14400
	v_add_co_u32 v8, s0, s1, v8
	ds_read_b128 v[0:3], v154 offset:6000
	ds_read_b128 v[4:7], v14 offset:13200
	v_add_co_ci_u32_e64 v9, s0, s4, v9, s0
	global_load_dwordx4 v[8:11], v[8:9], off
	s_waitcnt lgkmcnt(0)
	v_add_f64 v[12:13], v[0:1], -v[4:5]
	v_add_f64 v[23:24], v[2:3], v[6:7]
	v_add_f64 v[2:3], v[2:3], -v[6:7]
	v_add_f64 v[0:1], v[0:1], v[4:5]
	v_mul_f64 v[6:7], v[12:13], 0.5
	v_mul_f64 v[12:13], v[23:24], 0.5
	;; [unrolled: 1-line block ×3, first 2 shown]
	s_waitcnt vmcnt(2)
	v_mul_f64 v[4:5], v[6:7], v[17:18]
	v_fma_f64 v[23:24], v[12:13], v[17:18], v[2:3]
	v_fma_f64 v[2:3], v[12:13], v[17:18], -v[2:3]
	v_fma_f64 v[17:18], v[0:1], 0.5, v[4:5]
	v_fma_f64 v[0:1], v[0:1], 0.5, -v[4:5]
	v_fma_f64 v[4:5], -v[15:16], v[6:7], v[23:24]
	v_fma_f64 v[2:3], -v[15:16], v[6:7], v[2:3]
	v_fma_f64 v[6:7], v[12:13], v[15:16], v[17:18]
	v_fma_f64 v[0:1], -v[12:13], v[15:16], v[0:1]
	ds_write2_b64 v25, v[6:7], v[4:5] offset0:238 offset1:239
	ds_write_b128 v14, v[0:3] offset:13200
	ds_read_b128 v[0:3], v154 offset:7200
	ds_read_b128 v[4:7], v14 offset:12000
	s_waitcnt lgkmcnt(0)
	v_add_f64 v[12:13], v[0:1], -v[4:5]
	v_add_f64 v[15:16], v[2:3], v[6:7]
	v_add_f64 v[2:3], v[2:3], -v[6:7]
	v_add_f64 v[0:1], v[0:1], v[4:5]
	v_mul_f64 v[6:7], v[12:13], 0.5
	v_mul_f64 v[12:13], v[15:16], 0.5
	;; [unrolled: 1-line block ×3, first 2 shown]
	s_waitcnt vmcnt(1)
	v_mul_f64 v[4:5], v[6:7], v[21:22]
	v_fma_f64 v[15:16], v[12:13], v[21:22], v[2:3]
	v_fma_f64 v[2:3], v[12:13], v[21:22], -v[2:3]
	v_fma_f64 v[17:18], v[0:1], 0.5, v[4:5]
	v_fma_f64 v[0:1], v[0:1], 0.5, -v[4:5]
	v_fma_f64 v[4:5], -v[19:20], v[6:7], v[15:16]
	v_fma_f64 v[2:3], -v[19:20], v[6:7], v[2:3]
	v_fma_f64 v[6:7], v[12:13], v[19:20], v[17:18]
	v_fma_f64 v[0:1], -v[12:13], v[19:20], v[0:1]
	v_add_nc_u32_e32 v12, 0x1800, v154
	ds_write2_b64 v12, v[6:7], v[4:5] offset0:132 offset1:133
	ds_write_b128 v14, v[0:3] offset:12000
	ds_read_b128 v[0:3], v154 offset:8400
	ds_read_b128 v[4:7], v14 offset:10800
	s_waitcnt lgkmcnt(0)
	v_add_f64 v[12:13], v[0:1], -v[4:5]
	v_add_f64 v[15:16], v[2:3], v[6:7]
	v_add_f64 v[2:3], v[2:3], -v[6:7]
	v_add_f64 v[0:1], v[0:1], v[4:5]
	v_mul_f64 v[6:7], v[12:13], 0.5
	v_mul_f64 v[12:13], v[15:16], 0.5
	;; [unrolled: 1-line block ×3, first 2 shown]
	s_waitcnt vmcnt(0)
	v_mul_f64 v[4:5], v[6:7], v[10:11]
	v_fma_f64 v[15:16], v[12:13], v[10:11], v[2:3]
	v_fma_f64 v[2:3], v[12:13], v[10:11], -v[2:3]
	v_fma_f64 v[10:11], v[0:1], 0.5, v[4:5]
	v_fma_f64 v[0:1], v[0:1], 0.5, -v[4:5]
	v_fma_f64 v[4:5], -v[8:9], v[6:7], v[15:16]
	v_fma_f64 v[2:3], -v[8:9], v[6:7], v[2:3]
	v_fma_f64 v[6:7], v[12:13], v[8:9], v[10:11]
	v_fma_f64 v[0:1], -v[12:13], v[8:9], v[0:1]
	v_add_nc_u32_e32 v8, 0x2000, v154
	ds_write2_b64 v8, v[6:7], v[4:5] offset0:26 offset1:27
	ds_write_b128 v14, v[0:3] offset:10800
	s_waitcnt lgkmcnt(0)
	s_barrier
	buffer_gl0_inv
	s_and_saveexec_b32 s0, vcc_lo
	s_cbranch_execz .LBB0_29
; %bb.27:
	v_mov_b32_e32 v145, v147
	ds_read_b128 v[2:5], v154
	ds_read_b128 v[6:9], v154 offset:1200
	ds_read_b128 v[10:13], v154 offset:2400
	v_add_co_u32 v0, vcc_lo, s2, v148
	v_add_co_ci_u32_e32 v1, vcc_lo, s3, v149, vcc_lo
	v_lshlrev_b64 v[14:15], 4, v[144:145]
	v_add_co_u32 v34, vcc_lo, v0, v14
	v_add_co_ci_u32_e32 v35, vcc_lo, v1, v15, vcc_lo
	ds_read_b128 v[14:17], v154 offset:3600
	v_add_co_u32 v36, vcc_lo, 0x800, v34
	v_add_co_ci_u32_e32 v37, vcc_lo, 0, v35, vcc_lo
	s_waitcnt lgkmcnt(3)
	global_store_dwordx4 v[34:35], v[2:5], off
	s_waitcnt lgkmcnt(2)
	global_store_dwordx4 v[34:35], v[6:9], off offset:1200
	s_waitcnt lgkmcnt(1)
	global_store_dwordx4 v[36:37], v[10:13], off offset:352
	ds_read_b128 v[2:5], v154 offset:4800
	ds_read_b128 v[6:9], v154 offset:6000
	;; [unrolled: 1-line block ×7, first 2 shown]
	v_add_co_u32 v38, vcc_lo, 0x1000, v34
	v_add_co_ci_u32_e32 v39, vcc_lo, 0, v35, vcc_lo
	v_add_co_u32 v40, vcc_lo, 0x1800, v34
	v_add_co_ci_u32_e32 v41, vcc_lo, 0, v35, vcc_lo
	;; [unrolled: 2-line block ×3, first 2 shown]
	s_waitcnt lgkmcnt(7)
	global_store_dwordx4 v[36:37], v[14:17], off offset:1552
	s_waitcnt lgkmcnt(6)
	global_store_dwordx4 v[38:39], v[2:5], off offset:704
	;; [unrolled: 2-line block ×6, first 2 shown]
	v_add_co_u32 v22, vcc_lo, 0x2800, v34
	ds_read_b128 v[2:5], v154 offset:13200
	ds_read_b128 v[6:9], v154 offset:14400
	;; [unrolled: 1-line block ×5, first 2 shown]
	v_add_co_ci_u32_e32 v23, vcc_lo, 0, v35, vcc_lo
	s_waitcnt lgkmcnt(6)
	global_store_dwordx4 v[22:23], v[26:29], off offset:560
	s_waitcnt lgkmcnt(5)
	global_store_dwordx4 v[22:23], v[30:33], off offset:1760
	v_add_co_u32 v22, vcc_lo, 0x3000, v34
	v_add_co_ci_u32_e32 v23, vcc_lo, 0, v35, vcc_lo
	v_add_co_u32 v24, vcc_lo, 0x3800, v34
	v_add_co_ci_u32_e32 v25, vcc_lo, 0, v35, vcc_lo
	;; [unrolled: 2-line block ×3, first 2 shown]
	v_cmp_eq_u32_e32 vcc_lo, 0x4a, v144
	s_waitcnt lgkmcnt(4)
	global_store_dwordx4 v[22:23], v[2:5], off offset:912
	s_waitcnt lgkmcnt(3)
	global_store_dwordx4 v[24:25], v[6:9], off offset:64
	s_waitcnt lgkmcnt(2)
	global_store_dwordx4 v[24:25], v[10:13], off offset:1264
	s_waitcnt lgkmcnt(1)
	global_store_dwordx4 v[26:27], v[14:17], off offset:416
	s_waitcnt lgkmcnt(0)
	global_store_dwordx4 v[26:27], v[18:21], off offset:1616
	s_and_b32 exec_lo, exec_lo, vcc_lo
	s_cbranch_execz .LBB0_29
; %bb.28:
	ds_read_b128 v[2:5], v154 offset:18016
	v_add_co_u32 v0, vcc_lo, 0x4800, v0
	v_add_co_ci_u32_e32 v1, vcc_lo, 0, v1, vcc_lo
	s_waitcnt lgkmcnt(0)
	global_store_dwordx4 v[0:1], v[2:5], off offset:768
.LBB0_29:
	s_endpgm
	.section	.rodata,"a",@progbits
	.p2align	6, 0x0
	.amdhsa_kernel fft_rtc_fwd_len1200_factors_5_5_16_3_wgs_225_tpt_75_halfLds_dp_ip_CI_unitstride_sbrr_R2C_dirReg
		.amdhsa_group_segment_fixed_size 0
		.amdhsa_private_segment_fixed_size 0
		.amdhsa_kernarg_size 88
		.amdhsa_user_sgpr_count 6
		.amdhsa_user_sgpr_private_segment_buffer 1
		.amdhsa_user_sgpr_dispatch_ptr 0
		.amdhsa_user_sgpr_queue_ptr 0
		.amdhsa_user_sgpr_kernarg_segment_ptr 1
		.amdhsa_user_sgpr_dispatch_id 0
		.amdhsa_user_sgpr_flat_scratch_init 0
		.amdhsa_user_sgpr_private_segment_size 0
		.amdhsa_wavefront_size32 1
		.amdhsa_uses_dynamic_stack 0
		.amdhsa_system_sgpr_private_segment_wavefront_offset 0
		.amdhsa_system_sgpr_workgroup_id_x 1
		.amdhsa_system_sgpr_workgroup_id_y 0
		.amdhsa_system_sgpr_workgroup_id_z 0
		.amdhsa_system_sgpr_workgroup_info 0
		.amdhsa_system_vgpr_workitem_id 0
		.amdhsa_next_free_vgpr 205
		.amdhsa_next_free_sgpr 21
		.amdhsa_reserve_vcc 1
		.amdhsa_reserve_flat_scratch 0
		.amdhsa_float_round_mode_32 0
		.amdhsa_float_round_mode_16_64 0
		.amdhsa_float_denorm_mode_32 3
		.amdhsa_float_denorm_mode_16_64 3
		.amdhsa_dx10_clamp 1
		.amdhsa_ieee_mode 1
		.amdhsa_fp16_overflow 0
		.amdhsa_workgroup_processor_mode 1
		.amdhsa_memory_ordered 1
		.amdhsa_forward_progress 0
		.amdhsa_shared_vgpr_count 0
		.amdhsa_exception_fp_ieee_invalid_op 0
		.amdhsa_exception_fp_denorm_src 0
		.amdhsa_exception_fp_ieee_div_zero 0
		.amdhsa_exception_fp_ieee_overflow 0
		.amdhsa_exception_fp_ieee_underflow 0
		.amdhsa_exception_fp_ieee_inexact 0
		.amdhsa_exception_int_div_zero 0
	.end_amdhsa_kernel
	.text
.Lfunc_end0:
	.size	fft_rtc_fwd_len1200_factors_5_5_16_3_wgs_225_tpt_75_halfLds_dp_ip_CI_unitstride_sbrr_R2C_dirReg, .Lfunc_end0-fft_rtc_fwd_len1200_factors_5_5_16_3_wgs_225_tpt_75_halfLds_dp_ip_CI_unitstride_sbrr_R2C_dirReg
                                        ; -- End function
	.section	.AMDGPU.csdata,"",@progbits
; Kernel info:
; codeLenInByte = 14180
; NumSgprs: 23
; NumVgprs: 205
; ScratchSize: 0
; MemoryBound: 0
; FloatMode: 240
; IeeeMode: 1
; LDSByteSize: 0 bytes/workgroup (compile time only)
; SGPRBlocks: 2
; VGPRBlocks: 25
; NumSGPRsForWavesPerEU: 23
; NumVGPRsForWavesPerEU: 205
; Occupancy: 4
; WaveLimiterHint : 1
; COMPUTE_PGM_RSRC2:SCRATCH_EN: 0
; COMPUTE_PGM_RSRC2:USER_SGPR: 6
; COMPUTE_PGM_RSRC2:TRAP_HANDLER: 0
; COMPUTE_PGM_RSRC2:TGID_X_EN: 1
; COMPUTE_PGM_RSRC2:TGID_Y_EN: 0
; COMPUTE_PGM_RSRC2:TGID_Z_EN: 0
; COMPUTE_PGM_RSRC2:TIDIG_COMP_CNT: 0
	.text
	.p2alignl 6, 3214868480
	.fill 48, 4, 3214868480
	.type	__hip_cuid_b17012615df8ef0d,@object ; @__hip_cuid_b17012615df8ef0d
	.section	.bss,"aw",@nobits
	.globl	__hip_cuid_b17012615df8ef0d
__hip_cuid_b17012615df8ef0d:
	.byte	0                               ; 0x0
	.size	__hip_cuid_b17012615df8ef0d, 1

	.ident	"AMD clang version 19.0.0git (https://github.com/RadeonOpenCompute/llvm-project roc-6.4.0 25133 c7fe45cf4b819c5991fe208aaa96edf142730f1d)"
	.section	".note.GNU-stack","",@progbits
	.addrsig
	.addrsig_sym __hip_cuid_b17012615df8ef0d
	.amdgpu_metadata
---
amdhsa.kernels:
  - .args:
      - .actual_access:  read_only
        .address_space:  global
        .offset:         0
        .size:           8
        .value_kind:     global_buffer
      - .offset:         8
        .size:           8
        .value_kind:     by_value
      - .actual_access:  read_only
        .address_space:  global
        .offset:         16
        .size:           8
        .value_kind:     global_buffer
      - .actual_access:  read_only
        .address_space:  global
        .offset:         24
        .size:           8
        .value_kind:     global_buffer
      - .offset:         32
        .size:           8
        .value_kind:     by_value
      - .actual_access:  read_only
        .address_space:  global
        .offset:         40
        .size:           8
        .value_kind:     global_buffer
      - .actual_access:  read_only
        .address_space:  global
        .offset:         48
        .size:           8
        .value_kind:     global_buffer
      - .offset:         56
        .size:           4
        .value_kind:     by_value
      - .actual_access:  read_only
        .address_space:  global
        .offset:         64
        .size:           8
        .value_kind:     global_buffer
      - .actual_access:  read_only
        .address_space:  global
        .offset:         72
        .size:           8
        .value_kind:     global_buffer
      - .address_space:  global
        .offset:         80
        .size:           8
        .value_kind:     global_buffer
    .group_segment_fixed_size: 0
    .kernarg_segment_align: 8
    .kernarg_segment_size: 88
    .language:       OpenCL C
    .language_version:
      - 2
      - 0
    .max_flat_workgroup_size: 225
    .name:           fft_rtc_fwd_len1200_factors_5_5_16_3_wgs_225_tpt_75_halfLds_dp_ip_CI_unitstride_sbrr_R2C_dirReg
    .private_segment_fixed_size: 0
    .sgpr_count:     23
    .sgpr_spill_count: 0
    .symbol:         fft_rtc_fwd_len1200_factors_5_5_16_3_wgs_225_tpt_75_halfLds_dp_ip_CI_unitstride_sbrr_R2C_dirReg.kd
    .uniform_work_group_size: 1
    .uses_dynamic_stack: false
    .vgpr_count:     205
    .vgpr_spill_count: 0
    .wavefront_size: 32
    .workgroup_processor_mode: 1
amdhsa.target:   amdgcn-amd-amdhsa--gfx1030
amdhsa.version:
  - 1
  - 2
...

	.end_amdgpu_metadata
